;; amdgpu-corpus repo=ROCm/rocFFT kind=compiled arch=gfx1100 opt=O3
	.text
	.amdgcn_target "amdgcn-amd-amdhsa--gfx1100"
	.amdhsa_code_object_version 6
	.protected	fft_rtc_fwd_len945_factors_3_3_3_5_7_wgs_63_tpt_63_halfLds_dp_op_CI_CI_unitstride_sbrr_dirReg ; -- Begin function fft_rtc_fwd_len945_factors_3_3_3_5_7_wgs_63_tpt_63_halfLds_dp_op_CI_CI_unitstride_sbrr_dirReg
	.globl	fft_rtc_fwd_len945_factors_3_3_3_5_7_wgs_63_tpt_63_halfLds_dp_op_CI_CI_unitstride_sbrr_dirReg
	.p2align	8
	.type	fft_rtc_fwd_len945_factors_3_3_3_5_7_wgs_63_tpt_63_halfLds_dp_op_CI_CI_unitstride_sbrr_dirReg,@function
fft_rtc_fwd_len945_factors_3_3_3_5_7_wgs_63_tpt_63_halfLds_dp_op_CI_CI_unitstride_sbrr_dirReg: ; @fft_rtc_fwd_len945_factors_3_3_3_5_7_wgs_63_tpt_63_halfLds_dp_op_CI_CI_unitstride_sbrr_dirReg
; %bb.0:
	s_clause 0x2
	s_load_b128 s[4:7], s[0:1], 0x0
	s_load_b128 s[8:11], s[0:1], 0x58
	;; [unrolled: 1-line block ×3, first 2 shown]
	v_mul_u32_u24_e32 v1, 0x411, v0
	v_mov_b32_e32 v4, 0
	v_mov_b32_e32 v5, 0
	s_delay_alu instid0(VALU_DEP_3) | instskip(NEXT) | instid1(VALU_DEP_1)
	v_lshrrev_b32_e32 v2, 16, v1
	v_dual_mov_b32 v1, 0 :: v_dual_add_nc_u32 v6, s15, v2
	s_delay_alu instid0(VALU_DEP_1) | instskip(SKIP_2) | instid1(VALU_DEP_1)
	v_mov_b32_e32 v7, v1
	s_waitcnt lgkmcnt(0)
	v_cmp_lt_u64_e64 s2, s[6:7], 2
	s_and_b32 vcc_lo, exec_lo, s2
	s_cbranch_vccnz .LBB0_8
; %bb.1:
	s_load_b64 s[2:3], s[0:1], 0x10
	v_mov_b32_e32 v4, 0
	v_mov_b32_e32 v5, 0
	s_add_u32 s12, s18, 8
	s_addc_u32 s13, s19, 0
	s_add_u32 s14, s16, 8
	s_addc_u32 s15, s17, 0
	v_dual_mov_b32 v81, v5 :: v_dual_mov_b32 v80, v4
	s_mov_b64 s[22:23], 1
	s_waitcnt lgkmcnt(0)
	s_add_u32 s20, s2, 8
	s_addc_u32 s21, s3, 0
.LBB0_2:                                ; =>This Inner Loop Header: Depth=1
	s_load_b64 s[24:25], s[20:21], 0x0
                                        ; implicit-def: $vgpr82_vgpr83
	s_mov_b32 s2, exec_lo
	s_waitcnt lgkmcnt(0)
	v_or_b32_e32 v2, s25, v7
	s_delay_alu instid0(VALU_DEP_1)
	v_cmpx_ne_u64_e32 0, v[1:2]
	s_xor_b32 s3, exec_lo, s2
	s_cbranch_execz .LBB0_4
; %bb.3:                                ;   in Loop: Header=BB0_2 Depth=1
	v_cvt_f32_u32_e32 v2, s24
	v_cvt_f32_u32_e32 v3, s25
	s_sub_u32 s2, 0, s24
	s_subb_u32 s26, 0, s25
	s_delay_alu instid0(VALU_DEP_1) | instskip(NEXT) | instid1(VALU_DEP_1)
	v_fmac_f32_e32 v2, 0x4f800000, v3
	v_rcp_f32_e32 v2, v2
	s_waitcnt_depctr 0xfff
	v_mul_f32_e32 v2, 0x5f7ffffc, v2
	s_delay_alu instid0(VALU_DEP_1) | instskip(NEXT) | instid1(VALU_DEP_1)
	v_mul_f32_e32 v3, 0x2f800000, v2
	v_trunc_f32_e32 v3, v3
	s_delay_alu instid0(VALU_DEP_1) | instskip(SKIP_1) | instid1(VALU_DEP_2)
	v_fmac_f32_e32 v2, 0xcf800000, v3
	v_cvt_u32_f32_e32 v3, v3
	v_cvt_u32_f32_e32 v2, v2
	s_delay_alu instid0(VALU_DEP_2) | instskip(NEXT) | instid1(VALU_DEP_2)
	v_mul_lo_u32 v8, s2, v3
	v_mul_hi_u32 v9, s2, v2
	v_mul_lo_u32 v10, s26, v2
	s_delay_alu instid0(VALU_DEP_2) | instskip(SKIP_1) | instid1(VALU_DEP_2)
	v_add_nc_u32_e32 v8, v9, v8
	v_mul_lo_u32 v9, s2, v2
	v_add_nc_u32_e32 v8, v8, v10
	s_delay_alu instid0(VALU_DEP_2) | instskip(NEXT) | instid1(VALU_DEP_2)
	v_mul_hi_u32 v10, v2, v9
	v_mul_lo_u32 v11, v2, v8
	v_mul_hi_u32 v12, v2, v8
	v_mul_hi_u32 v13, v3, v9
	v_mul_lo_u32 v9, v3, v9
	v_mul_hi_u32 v14, v3, v8
	v_mul_lo_u32 v8, v3, v8
	v_add_co_u32 v10, vcc_lo, v10, v11
	v_add_co_ci_u32_e32 v11, vcc_lo, 0, v12, vcc_lo
	s_delay_alu instid0(VALU_DEP_2) | instskip(NEXT) | instid1(VALU_DEP_2)
	v_add_co_u32 v9, vcc_lo, v10, v9
	v_add_co_ci_u32_e32 v9, vcc_lo, v11, v13, vcc_lo
	v_add_co_ci_u32_e32 v10, vcc_lo, 0, v14, vcc_lo
	s_delay_alu instid0(VALU_DEP_2) | instskip(NEXT) | instid1(VALU_DEP_2)
	v_add_co_u32 v8, vcc_lo, v9, v8
	v_add_co_ci_u32_e32 v9, vcc_lo, 0, v10, vcc_lo
	s_delay_alu instid0(VALU_DEP_2) | instskip(NEXT) | instid1(VALU_DEP_2)
	v_add_co_u32 v2, vcc_lo, v2, v8
	v_add_co_ci_u32_e32 v3, vcc_lo, v3, v9, vcc_lo
	s_delay_alu instid0(VALU_DEP_2) | instskip(SKIP_1) | instid1(VALU_DEP_3)
	v_mul_hi_u32 v8, s2, v2
	v_mul_lo_u32 v10, s26, v2
	v_mul_lo_u32 v9, s2, v3
	s_delay_alu instid0(VALU_DEP_1) | instskip(SKIP_1) | instid1(VALU_DEP_2)
	v_add_nc_u32_e32 v8, v8, v9
	v_mul_lo_u32 v9, s2, v2
	v_add_nc_u32_e32 v8, v8, v10
	s_delay_alu instid0(VALU_DEP_2) | instskip(NEXT) | instid1(VALU_DEP_2)
	v_mul_hi_u32 v10, v2, v9
	v_mul_lo_u32 v11, v2, v8
	v_mul_hi_u32 v12, v2, v8
	v_mul_hi_u32 v13, v3, v9
	v_mul_lo_u32 v9, v3, v9
	v_mul_hi_u32 v14, v3, v8
	v_mul_lo_u32 v8, v3, v8
	v_add_co_u32 v10, vcc_lo, v10, v11
	v_add_co_ci_u32_e32 v11, vcc_lo, 0, v12, vcc_lo
	s_delay_alu instid0(VALU_DEP_2) | instskip(NEXT) | instid1(VALU_DEP_2)
	v_add_co_u32 v9, vcc_lo, v10, v9
	v_add_co_ci_u32_e32 v9, vcc_lo, v11, v13, vcc_lo
	v_add_co_ci_u32_e32 v10, vcc_lo, 0, v14, vcc_lo
	s_delay_alu instid0(VALU_DEP_2) | instskip(NEXT) | instid1(VALU_DEP_2)
	v_add_co_u32 v8, vcc_lo, v9, v8
	v_add_co_ci_u32_e32 v9, vcc_lo, 0, v10, vcc_lo
	s_delay_alu instid0(VALU_DEP_2) | instskip(NEXT) | instid1(VALU_DEP_2)
	v_add_co_u32 v10, vcc_lo, v2, v8
	v_add_co_ci_u32_e32 v12, vcc_lo, v3, v9, vcc_lo
	s_delay_alu instid0(VALU_DEP_2) | instskip(SKIP_1) | instid1(VALU_DEP_3)
	v_mul_hi_u32 v13, v6, v10
	v_mad_u64_u32 v[8:9], null, v7, v10, 0
	v_mad_u64_u32 v[2:3], null, v6, v12, 0
	;; [unrolled: 1-line block ×3, first 2 shown]
	s_delay_alu instid0(VALU_DEP_2) | instskip(NEXT) | instid1(VALU_DEP_3)
	v_add_co_u32 v2, vcc_lo, v13, v2
	v_add_co_ci_u32_e32 v3, vcc_lo, 0, v3, vcc_lo
	s_delay_alu instid0(VALU_DEP_2) | instskip(NEXT) | instid1(VALU_DEP_2)
	v_add_co_u32 v2, vcc_lo, v2, v8
	v_add_co_ci_u32_e32 v2, vcc_lo, v3, v9, vcc_lo
	v_add_co_ci_u32_e32 v3, vcc_lo, 0, v11, vcc_lo
	s_delay_alu instid0(VALU_DEP_2) | instskip(NEXT) | instid1(VALU_DEP_2)
	v_add_co_u32 v8, vcc_lo, v2, v10
	v_add_co_ci_u32_e32 v9, vcc_lo, 0, v3, vcc_lo
	s_delay_alu instid0(VALU_DEP_2) | instskip(SKIP_1) | instid1(VALU_DEP_3)
	v_mul_lo_u32 v10, s25, v8
	v_mad_u64_u32 v[2:3], null, s24, v8, 0
	v_mul_lo_u32 v11, s24, v9
	s_delay_alu instid0(VALU_DEP_2) | instskip(NEXT) | instid1(VALU_DEP_2)
	v_sub_co_u32 v2, vcc_lo, v6, v2
	v_add3_u32 v3, v3, v11, v10
	s_delay_alu instid0(VALU_DEP_1) | instskip(NEXT) | instid1(VALU_DEP_1)
	v_sub_nc_u32_e32 v10, v7, v3
	v_subrev_co_ci_u32_e64 v10, s2, s25, v10, vcc_lo
	v_add_co_u32 v11, s2, v8, 2
	s_delay_alu instid0(VALU_DEP_1) | instskip(SKIP_3) | instid1(VALU_DEP_3)
	v_add_co_ci_u32_e64 v12, s2, 0, v9, s2
	v_sub_co_u32 v13, s2, v2, s24
	v_sub_co_ci_u32_e32 v3, vcc_lo, v7, v3, vcc_lo
	v_subrev_co_ci_u32_e64 v10, s2, 0, v10, s2
	v_cmp_le_u32_e32 vcc_lo, s24, v13
	s_delay_alu instid0(VALU_DEP_3) | instskip(SKIP_1) | instid1(VALU_DEP_4)
	v_cmp_eq_u32_e64 s2, s25, v3
	v_cndmask_b32_e64 v13, 0, -1, vcc_lo
	v_cmp_le_u32_e32 vcc_lo, s25, v10
	v_cndmask_b32_e64 v14, 0, -1, vcc_lo
	v_cmp_le_u32_e32 vcc_lo, s24, v2
	;; [unrolled: 2-line block ×3, first 2 shown]
	v_cndmask_b32_e64 v15, 0, -1, vcc_lo
	v_cmp_eq_u32_e32 vcc_lo, s25, v10
	s_delay_alu instid0(VALU_DEP_2) | instskip(SKIP_3) | instid1(VALU_DEP_3)
	v_cndmask_b32_e64 v2, v15, v2, s2
	v_cndmask_b32_e32 v10, v14, v13, vcc_lo
	v_add_co_u32 v13, vcc_lo, v8, 1
	v_add_co_ci_u32_e32 v14, vcc_lo, 0, v9, vcc_lo
	v_cmp_ne_u32_e32 vcc_lo, 0, v10
	s_delay_alu instid0(VALU_DEP_2) | instskip(SKIP_1) | instid1(VALU_DEP_2)
	v_dual_cndmask_b32 v3, v14, v12 :: v_dual_cndmask_b32 v10, v13, v11
	v_cmp_ne_u32_e32 vcc_lo, 0, v2
	v_dual_cndmask_b32 v83, v9, v3 :: v_dual_cndmask_b32 v82, v8, v10
.LBB0_4:                                ;   in Loop: Header=BB0_2 Depth=1
	s_and_not1_saveexec_b32 s2, s3
	s_cbranch_execz .LBB0_6
; %bb.5:                                ;   in Loop: Header=BB0_2 Depth=1
	v_cvt_f32_u32_e32 v2, s24
	s_sub_i32 s3, 0, s24
	v_mov_b32_e32 v83, v1
	s_delay_alu instid0(VALU_DEP_2) | instskip(SKIP_2) | instid1(VALU_DEP_1)
	v_rcp_iflag_f32_e32 v2, v2
	s_waitcnt_depctr 0xfff
	v_mul_f32_e32 v2, 0x4f7ffffe, v2
	v_cvt_u32_f32_e32 v2, v2
	s_delay_alu instid0(VALU_DEP_1) | instskip(NEXT) | instid1(VALU_DEP_1)
	v_mul_lo_u32 v3, s3, v2
	v_mul_hi_u32 v3, v2, v3
	s_delay_alu instid0(VALU_DEP_1) | instskip(NEXT) | instid1(VALU_DEP_1)
	v_add_nc_u32_e32 v2, v2, v3
	v_mul_hi_u32 v2, v6, v2
	s_delay_alu instid0(VALU_DEP_1) | instskip(SKIP_1) | instid1(VALU_DEP_2)
	v_mul_lo_u32 v3, v2, s24
	v_add_nc_u32_e32 v8, 1, v2
	v_sub_nc_u32_e32 v3, v6, v3
	s_delay_alu instid0(VALU_DEP_1) | instskip(SKIP_1) | instid1(VALU_DEP_2)
	v_subrev_nc_u32_e32 v9, s24, v3
	v_cmp_le_u32_e32 vcc_lo, s24, v3
	v_dual_cndmask_b32 v3, v3, v9 :: v_dual_cndmask_b32 v2, v2, v8
	s_delay_alu instid0(VALU_DEP_1) | instskip(NEXT) | instid1(VALU_DEP_2)
	v_cmp_le_u32_e32 vcc_lo, s24, v3
	v_add_nc_u32_e32 v8, 1, v2
	s_delay_alu instid0(VALU_DEP_1)
	v_cndmask_b32_e32 v82, v2, v8, vcc_lo
.LBB0_6:                                ;   in Loop: Header=BB0_2 Depth=1
	s_or_b32 exec_lo, exec_lo, s2
	s_delay_alu instid0(VALU_DEP_1) | instskip(NEXT) | instid1(VALU_DEP_2)
	v_mul_lo_u32 v8, v83, s24
	v_mul_lo_u32 v9, v82, s25
	s_load_b64 s[2:3], s[14:15], 0x0
	v_mad_u64_u32 v[2:3], null, v82, s24, 0
	s_load_b64 s[24:25], s[12:13], 0x0
	s_add_u32 s22, s22, 1
	s_addc_u32 s23, s23, 0
	s_add_u32 s12, s12, 8
	s_addc_u32 s13, s13, 0
	s_add_u32 s14, s14, 8
	s_delay_alu instid0(VALU_DEP_1) | instskip(SKIP_3) | instid1(VALU_DEP_2)
	v_add3_u32 v3, v3, v9, v8
	v_sub_co_u32 v8, vcc_lo, v6, v2
	s_addc_u32 s15, s15, 0
	s_add_u32 s20, s20, 8
	v_sub_co_ci_u32_e32 v6, vcc_lo, v7, v3, vcc_lo
	s_addc_u32 s21, s21, 0
	s_waitcnt lgkmcnt(0)
	s_delay_alu instid0(VALU_DEP_1)
	v_mul_lo_u32 v9, s2, v6
	v_mul_lo_u32 v10, s3, v8
	v_mad_u64_u32 v[2:3], null, s2, v8, v[4:5]
	v_mul_lo_u32 v11, s24, v6
	v_mul_lo_u32 v12, s25, v8
	v_mad_u64_u32 v[6:7], null, s24, v8, v[80:81]
	v_cmp_ge_u64_e64 s2, s[22:23], s[6:7]
	v_add3_u32 v5, v10, v3, v9
	v_mov_b32_e32 v4, v2
	s_delay_alu instid0(VALU_DEP_4)
	v_add3_u32 v81, v12, v7, v11
	v_mov_b32_e32 v80, v6
	s_and_b32 vcc_lo, exec_lo, s2
	s_cbranch_vccnz .LBB0_9
; %bb.7:                                ;   in Loop: Header=BB0_2 Depth=1
	v_dual_mov_b32 v6, v82 :: v_dual_mov_b32 v7, v83
	s_branch .LBB0_2
.LBB0_8:
	v_dual_mov_b32 v81, v5 :: v_dual_mov_b32 v80, v4
	v_dual_mov_b32 v83, v7 :: v_dual_mov_b32 v82, v6
.LBB0_9:
	s_load_b64 s[0:1], s[0:1], 0x28
	v_mul_hi_u32 v1, 0x4104105, v0
	s_lshl_b64 s[6:7], s[6:7], 3
                                        ; implicit-def: $vgpr100
	s_delay_alu instid0(SALU_CYCLE_1) | instskip(SKIP_4) | instid1(VALU_DEP_1)
	s_add_u32 s2, s18, s6
	s_addc_u32 s3, s19, s7
	s_waitcnt lgkmcnt(0)
	v_cmp_gt_u64_e32 vcc_lo, s[0:1], v[82:83]
	v_cmp_le_u64_e64 s0, s[0:1], v[82:83]
	s_and_saveexec_b32 s1, s0
	s_delay_alu instid0(SALU_CYCLE_1)
	s_xor_b32 s0, exec_lo, s1
; %bb.10:
	v_mul_u32_u24_e32 v1, 63, v1
                                        ; implicit-def: $vgpr4_vgpr5
	s_delay_alu instid0(VALU_DEP_1)
	v_sub_nc_u32_e32 v100, v0, v1
                                        ; implicit-def: $vgpr1
                                        ; implicit-def: $vgpr0
; %bb.11:
	s_or_saveexec_b32 s1, s0
                                        ; implicit-def: $vgpr18_vgpr19
                                        ; implicit-def: $vgpr54_vgpr55
                                        ; implicit-def: $vgpr38_vgpr39
                                        ; implicit-def: $vgpr6_vgpr7
                                        ; implicit-def: $vgpr50_vgpr51
                                        ; implicit-def: $vgpr34_vgpr35
                                        ; implicit-def: $vgpr2_vgpr3
                                        ; implicit-def: $vgpr42_vgpr43
                                        ; implicit-def: $vgpr22_vgpr23
                                        ; implicit-def: $vgpr10_vgpr11
                                        ; implicit-def: $vgpr46_vgpr47
                                        ; implicit-def: $vgpr30_vgpr31
                                        ; implicit-def: $vgpr14_vgpr15
                                        ; implicit-def: $vgpr58_vgpr59
                                        ; implicit-def: $vgpr26_vgpr27
	s_delay_alu instid0(SALU_CYCLE_1)
	s_xor_b32 exec_lo, exec_lo, s1
	s_cbranch_execz .LBB0_13
; %bb.12:
	s_add_u32 s6, s16, s6
	s_addc_u32 s7, s17, s7
	s_load_b64 s[6:7], s[6:7], 0x0
	s_waitcnt lgkmcnt(0)
	v_mul_lo_u32 v6, s7, v82
	v_mul_lo_u32 v7, s6, v83
	v_mad_u64_u32 v[2:3], null, s6, v82, 0
	s_delay_alu instid0(VALU_DEP_1) | instskip(SKIP_1) | instid1(VALU_DEP_2)
	v_add3_u32 v3, v3, v7, v6
	v_mul_u32_u24_e32 v6, 63, v1
	v_lshlrev_b64 v[1:2], 4, v[2:3]
	v_lshlrev_b64 v[3:4], 4, v[4:5]
	s_delay_alu instid0(VALU_DEP_3) | instskip(NEXT) | instid1(VALU_DEP_3)
	v_sub_nc_u32_e32 v100, v0, v6
	v_add_co_u32 v0, s0, s8, v1
	s_delay_alu instid0(VALU_DEP_1) | instskip(NEXT) | instid1(VALU_DEP_3)
	v_add_co_ci_u32_e64 v1, s0, s9, v2, s0
	v_lshlrev_b32_e32 v2, 4, v100
	s_delay_alu instid0(VALU_DEP_3) | instskip(NEXT) | instid1(VALU_DEP_1)
	v_add_co_u32 v0, s0, v0, v3
	v_add_co_ci_u32_e64 v1, s0, v1, v4, s0
	s_delay_alu instid0(VALU_DEP_2) | instskip(NEXT) | instid1(VALU_DEP_1)
	v_add_co_u32 v16, s0, v0, v2
	v_add_co_ci_u32_e64 v17, s0, 0, v1, s0
	s_clause 0x3
	global_load_b128 v[24:27], v[16:17], off
	global_load_b128 v[28:31], v[16:17], off offset:1008
	global_load_b128 v[20:23], v[16:17], off offset:2016
	;; [unrolled: 1-line block ×3, first 2 shown]
	v_add_co_u32 v18, s0, 0x1000, v16
	s_delay_alu instid0(VALU_DEP_1) | instskip(SKIP_1) | instid1(VALU_DEP_1)
	v_add_co_ci_u32_e64 v19, s0, 0, v17, s0
	v_add_co_u32 v52, s0, 0x2000, v16
	v_add_co_ci_u32_e64 v53, s0, 0, v17, s0
	v_add_co_u32 v60, s0, 0x3000, v16
	s_delay_alu instid0(VALU_DEP_1)
	v_add_co_ci_u32_e64 v61, s0, 0, v17, s0
	s_clause 0xa
	global_load_b128 v[12:15], v[52:53], off offset:1888
	global_load_b128 v[8:11], v[52:53], off offset:2896
	global_load_b128 v[44:47], v[18:19], off offset:1952
	global_load_b128 v[40:43], v[18:19], off offset:2960
	global_load_b128 v[0:3], v[52:53], off offset:3904
	global_load_b128 v[4:7], v[60:61], off offset:816
	global_load_b128 v[56:59], v[18:19], off offset:944
	global_load_b128 v[36:39], v[16:17], off offset:4032
	global_load_b128 v[48:51], v[18:19], off offset:3968
	global_load_b128 v[52:55], v[52:53], off offset:880
	global_load_b128 v[16:19], v[60:61], off offset:1824
.LBB0_13:
	s_or_b32 exec_lo, exec_lo, s1
	s_waitcnt vmcnt(4)
	v_add_f64 v[60:61], v[12:13], v[56:57]
	v_add_f64 v[62:63], v[8:9], v[44:45]
	;; [unrolled: 1-line block ×3, first 2 shown]
	s_waitcnt vmcnt(2)
	v_add_f64 v[66:67], v[4:5], v[48:49]
	s_waitcnt vmcnt(0)
	v_add_f64 v[68:69], v[16:17], v[52:53]
	v_add_f64 v[70:71], v[14:15], v[58:59]
	;; [unrolled: 1-line block ×7, first 2 shown]
	v_add_f64 v[78:79], v[58:59], -v[14:15]
	v_add_f64 v[88:89], v[44:45], v[28:29]
	v_add_f64 v[92:93], v[40:41], v[20:21]
	;; [unrolled: 1-line block ×5, first 2 shown]
	v_add_f64 v[56:57], v[56:57], -v[12:13]
	v_add_f64 v[90:91], v[46:47], -v[10:11]
	v_add_f64 v[46:47], v[46:47], v[30:31]
	v_add_f64 v[44:45], v[44:45], -v[8:9]
	v_add_f64 v[40:41], v[40:41], -v[0:1]
	;; [unrolled: 1-line block ×4, first 2 shown]
	s_mov_b32 s0, 0xe8584caa
	s_mov_b32 s1, 0x3febb67a
	;; [unrolled: 1-line block ×4, first 2 shown]
	v_mad_u32_u24 v98, v100, 24, 0
	v_lshlrev_b32_e32 v99, 4, v100
	v_add_nc_u32_e32 v102, 63, v100
	v_add_nc_u32_e32 v101, 0x7e, v100
	s_load_b64 s[2:3], s[2:3], 0x0
	s_mov_b32 s9, 0xbfee6f0e
	v_sub_nc_u32_e32 v103, v98, v99
	s_mov_b32 s12, 0x4755a5e
	s_mov_b32 s13, 0x3fe2cf23
	;; [unrolled: 1-line block ×3, first 2 shown]
	v_fma_f64 v[24:25], v[60:61], -0.5, v[24:25]
	v_fma_f64 v[28:29], v[62:63], -0.5, v[28:29]
	v_add_f64 v[62:63], v[50:51], -v[6:7]
	v_fma_f64 v[20:21], v[64:65], -0.5, v[20:21]
	v_fma_f64 v[32:33], v[66:67], -0.5, v[32:33]
	v_add_f64 v[64:65], v[54:55], -v[18:19]
	v_fma_f64 v[36:37], v[68:69], -0.5, v[36:37]
	v_fma_f64 v[26:27], v[70:71], -0.5, v[26:27]
	;; [unrolled: 1-line block ×3, first 2 shown]
	v_add_f64 v[60:61], v[42:43], -v[2:3]
	v_add_f64 v[42:43], v[42:43], v[22:23]
	v_add_f64 v[50:51], v[50:51], v[34:35]
	v_fma_f64 v[22:23], v[74:75], -0.5, v[22:23]
	v_fma_f64 v[34:35], v[84:85], -0.5, v[34:35]
	v_add_f64 v[54:55], v[54:55], v[38:39]
	v_fma_f64 v[38:39], v[86:87], -0.5, v[38:39]
	v_add_f64 v[12:13], v[12:13], v[76:77]
	v_add_f64 v[14:15], v[14:15], v[58:59]
	;; [unrolled: 1-line block ×7, first 2 shown]
	v_and_b32_e32 v17, 0xff, v102
	v_add_nc_u32_e32 v16, 0x400, v103
	v_add_nc_u32_e32 v104, 0x1000, v103
	;; [unrolled: 1-line block ×9, first 2 shown]
	s_mov_b32 s14, s12
	s_mov_b32 s16, 0x372fe950
	;; [unrolled: 1-line block ×3, first 2 shown]
	v_fma_f64 v[68:69], v[78:79], s[0:1], v[24:25]
	v_fma_f64 v[70:71], v[90:91], s[0:1], v[28:29]
	;; [unrolled: 1-line block ×16, first 2 shown]
	v_add_f64 v[84:85], v[6:7], v[50:51]
	v_fma_f64 v[34:35], v[48:49], s[6:7], v[34:35]
	v_add_f64 v[54:55], v[18:19], v[54:55]
	v_fma_f64 v[88:89], v[52:53], s[6:7], v[38:39]
	v_and_b32_e32 v20, 0xff, v100
	v_fma_f64 v[90:91], v[40:41], s[6:7], v[22:23]
	v_add_nc_u16 v23, v100, 0xbd
	v_add_f64 v[86:87], v[2:3], v[42:43]
	v_fma_f64 v[92:93], v[52:53], s[0:1], v[38:39]
	v_mul_lo_u16 v21, 0xab, v20
	v_and_b32_e32 v18, 0xff, v101
	ds_store_2addr_b64 v98, v[12:13], v[68:69] offset1:1
	ds_store_2addr_b64 v98, v[8:9], v[70:71] offset0:189 offset1:190
	ds_store_2addr_b64 v98, v[24:25], v[28:29] offset0:2 offset1:191
	;; [unrolled: 1-line block ×3, first 2 shown]
	ds_store_2addr_b64 v95, v[4:5], v[32:33] offset1:1
	ds_store_2addr_b64 v97, v[66:67], v[62:63] offset1:1
	;; [unrolled: 1-line block ×3, first 2 shown]
	ds_store_b64 v98, v[36:37] offset:6064
	v_lshrrev_b16 v21, 9, v21
	s_waitcnt lgkmcnt(0)
	s_barrier
	buffer_gl0_inv
	ds_load_2addr_b64 v[4:7], v103 offset1:63
	ds_load_2addr_b64 v[0:3], v16 offset0:124 offset1:187
	ds_load_2addr_b64 v[37:40], v104 offset0:118 offset1:181
	;; [unrolled: 1-line block ×6, first 2 shown]
	ds_load_b64 v[28:29], v103 offset:7056
	v_mul_lo_u16 v99, v21, 3
	s_waitcnt lgkmcnt(0)
	s_barrier
	buffer_gl0_inv
	ds_store_2addr_b64 v98, v[14:15], v[64:65] offset1:1
	ds_store_2addr_b64 v98, v[58:59], v[56:57] offset0:189 offset1:190
	ds_store_2addr_b64 v98, v[26:27], v[30:31] offset0:2 offset1:191
	v_sub_nc_u16 v12, v100, v99
	v_mul_lo_u16 v13, 0xab, v17
	v_and_b32_e32 v26, 0xff, v23
	v_add_nc_u32_e32 v24, 0xfc, v100
	ds_store_2addr_b64 v96, v[76:77], v[78:79] offset0:60 offset1:249
	v_and_b32_e32 v22, 0xff, v12
	v_lshrrev_b16 v25, 9, v13
	v_mul_lo_u16 v12, 0xab, v18
	v_mul_lo_u16 v13, 0xab, v26
	v_and_b32_e32 v27, 0xffff, v24
	ds_store_2addr_b64 v95, v[84:85], v[34:35] offset1:1
	ds_store_2addr_b64 v97, v[54:55], v[88:89] offset1:1
	v_mul_lo_u16 v14, v25, 3
	v_lshrrev_b16 v34, 9, v12
	v_lshrrev_b16 v35, 9, v13
	v_mul_u32_u24_e32 v12, 0xaaab, v27
	v_lshlrev_b32_e32 v13, 5, v22
	ds_store_2addr_b64 v94, v[86:87], v[90:91] offset1:1
	ds_store_b64 v98, v[92:93] offset:6064
	v_mul_lo_u16 v15, v34, 3
	v_mul_lo_u16 v19, v35, 3
	v_lshrrev_b32_e32 v36, 17, v12
	v_sub_nc_u16 v12, v102, v14
	s_waitcnt lgkmcnt(0)
	v_sub_nc_u16 v14, v101, v15
	v_sub_nc_u16 v15, v23, v19
	v_mul_lo_u16 v19, v36, 3
	v_and_b32_e32 v32, 0xff, v12
	s_barrier
	v_and_b32_e32 v33, 0xff, v14
	v_and_b32_e32 v30, 0xff, v15
	v_sub_nc_u16 v12, v24, v19
	v_lshlrev_b32_e32 v14, 5, v32
	buffer_gl0_inv
	v_lshlrev_b32_e32 v15, 5, v33
	v_lshlrev_b32_e32 v19, 5, v30
	v_and_b32_e32 v31, 0xffff, v12
	s_clause 0x3
	global_load_b128 v[53:56], v13, s[4:5] offset:16
	global_load_b128 v[57:60], v13, s[4:5]
	global_load_b128 v[61:64], v14, s[4:5] offset:16
	global_load_b128 v[65:68], v14, s[4:5]
	v_and_b32_e32 v21, 0xffff, v21
	v_lshlrev_b32_e32 v30, 3, v30
	v_lshlrev_b32_e32 v12, 5, v31
	s_clause 0x5
	global_load_b128 v[69:72], v15, s[4:5]
	global_load_b128 v[73:76], v15, s[4:5] offset:16
	global_load_b128 v[84:87], v19, s[4:5] offset:16
	global_load_b128 v[88:91], v19, s[4:5]
	global_load_b128 v[92:95], v12, s[4:5]
	global_load_b128 v[96:99], v12, s[4:5] offset:16
	ds_load_2addr_b64 v[108:111], v104 offset0:118 offset1:181
	ds_load_2addr_b64 v[12:15], v16 offset0:124 offset1:187
	;; [unrolled: 1-line block ×5, first 2 shown]
	ds_load_b64 v[77:78], v103 offset:7056
	v_mul_lo_u16 v19, v20, 57
	v_lshlrev_b32_e32 v31, 3, v31
	s_delay_alu instid0(VALU_DEP_2)
	v_lshrrev_b16 v19, 9, v19
	s_waitcnt vmcnt(9) lgkmcnt(5)
	v_mul_f64 v[124:125], v[108:109], v[55:56]
	s_waitcnt vmcnt(8) lgkmcnt(4)
	v_mul_f64 v[126:127], v[14:15], v[59:60]
	s_waitcnt vmcnt(7)
	v_mul_f64 v[128:129], v[110:111], v[63:64]
	s_waitcnt vmcnt(6) lgkmcnt(3)
	v_mul_f64 v[130:131], v[112:113], v[67:68]
	s_waitcnt vmcnt(5)
	;; [unrolled: 4-line block ×4, first 2 shown]
	v_mul_f64 v[140:141], v[122:123], v[94:95]
	s_waitcnt vmcnt(0) lgkmcnt(0)
	v_mul_f64 v[142:143], v[77:78], v[98:99]
	v_mul_f64 v[55:56], v[37:38], v[55:56]
	;; [unrolled: 1-line block ×11, first 2 shown]
	v_fma_f64 v[124:125], v[37:38], v[53:54], -v[124:125]
	v_fma_f64 v[2:3], v[2:3], v[57:58], -v[126:127]
	v_fma_f64 v[126:127], v[39:40], v[61:62], -v[128:129]
	v_fma_f64 v[128:129], v[41:42], v[65:66], -v[130:131]
	v_fma_f64 v[42:43], v[43:44], v[69:70], -v[132:133]
	v_fma_f64 v[44:45], v[45:46], v[73:74], -v[134:135]
	v_fma_f64 v[46:47], v[47:48], v[84:85], -v[136:137]
	v_fma_f64 v[48:49], v[49:50], v[88:89], -v[138:139]
	v_fma_f64 v[50:51], v[51:52], v[92:93], -v[140:141]
	v_fma_f64 v[130:131], v[28:29], v[96:97], -v[142:143]
	v_fma_f64 v[52:53], v[108:109], v[53:54], v[55:56]
	v_fma_f64 v[14:15], v[14:15], v[57:58], v[59:60]
	;; [unrolled: 1-line block ×10, first 2 shown]
	v_mul_lo_u16 v28, v17, 57
	v_mul_lo_u16 v29, v18, 57
	;; [unrolled: 1-line block ×3, first 2 shown]
	v_mul_u32_u24_e32 v38, 0xe38f, v27
	v_mul_lo_u16 v39, v19, 9
	v_lshrrev_b16 v26, 9, v28
	v_lshrrev_b16 v27, 9, v29
	;; [unrolled: 1-line block ×3, first 2 shown]
	v_lshrrev_b32_e32 v29, 19, v38
	v_mul_u32_u24_e32 v114, 0x48, v21
	v_and_b32_e32 v21, 0xffff, v25
	v_and_b32_e32 v25, 0xffff, v34
	;; [unrolled: 1-line block ×3, first 2 shown]
	v_mul_u32_u24_e32 v115, 0x48, v36
	v_sub_nc_u16 v35, v100, v39
	v_mul_lo_u16 v36, v26, 9
	v_mul_lo_u16 v37, v27, 9
	;; [unrolled: 1-line block ×4, first 2 shown]
	v_add_f64 v[70:71], v[2:3], v[124:125]
	v_mul_u32_u24_e32 v116, 0x48, v21
	v_add_f64 v[72:73], v[128:129], v[126:127]
	v_mul_u32_u24_e32 v117, 0x48, v25
	;; [unrolled: 2-line block ×3, first 2 shown]
	v_add_f64 v[76:77], v[48:49], v[46:47]
	v_and_b32_e32 v25, 0xff, v35
	v_add_f64 v[78:79], v[50:51], v[130:131]
	v_sub_nc_u16 v21, v102, v36
	v_add_f64 v[84:85], v[14:15], v[52:53]
	v_sub_nc_u16 v119, v101, v37
	;; [unrolled: 2-line block ×4, first 2 shown]
	v_add_f64 v[90:91], v[64:65], v[62:63]
	ds_load_2addr_b64 v[34:37], v103 offset1:63
	v_add_f64 v[94:95], v[66:67], v[68:69]
	ds_load_2addr_b64 v[38:41], v103 offset0:126 offset1:189
	v_add_f64 v[92:93], v[4:5], v[2:3]
	v_add_f64 v[110:111], v[0:1], v[50:51]
	v_add_f64 v[112:113], v[14:15], -v[52:53]
	v_lshlrev_b32_e32 v121, 3, v33
	v_add_f64 v[2:3], v[2:3], -v[124:125]
	v_add_f64 v[96:97], v[6:7], v[128:129]
	v_add_f64 v[98:99], v[8:9], v[42:43]
	;; [unrolled: 1-line block ×3, first 2 shown]
	v_add_f64 v[42:43], v[42:43], -v[44:45]
	v_add_f64 v[48:49], v[48:49], -v[46:47]
	;; [unrolled: 1-line block ×3, first 2 shown]
	v_and_b32_e32 v21, 0xff, v21
	v_lshlrev_b32_e32 v120, 5, v25
	v_and_b32_e32 v23, 0xff, v23
	v_and_b32_e32 v24, 0xffff, v24
	s_waitcnt lgkmcnt(0)
	s_barrier
	v_add_f64 v[14:15], v[34:35], v[14:15]
	v_fma_f64 v[4:5], v[70:71], -0.5, v[4:5]
	v_add_f64 v[70:71], v[56:57], -v[54:55]
	v_fma_f64 v[6:7], v[72:73], -0.5, v[6:7]
	v_add_f64 v[72:73], v[58:59], -v[60:61]
	v_fma_f64 v[8:9], v[74:75], -0.5, v[8:9]
	v_add_f64 v[74:75], v[64:65], -v[62:63]
	v_fma_f64 v[10:11], v[76:77], -0.5, v[10:11]
	v_add_f64 v[76:77], v[66:67], -v[68:69]
	v_fma_f64 v[0:1], v[78:79], -0.5, v[0:1]
	v_lshlrev_b32_e32 v78, 3, v22
	v_and_b32_e32 v22, 0xff, v119
	v_lshlrev_b32_e32 v119, 3, v32
	v_add_f64 v[32:33], v[36:37], v[56:57]
	v_add_f64 v[56:57], v[38:39], v[58:59]
	v_fma_f64 v[34:35], v[84:85], -0.5, v[34:35]
	v_add_f64 v[58:59], v[40:41], v[64:65]
	v_add_f64 v[64:65], v[12:13], v[66:67]
	v_add_f64 v[66:67], v[128:129], -v[126:127]
	v_fma_f64 v[36:37], v[86:87], -0.5, v[36:37]
	v_fma_f64 v[38:39], v[88:89], -0.5, v[38:39]
	v_fma_f64 v[40:41], v[90:91], -0.5, v[40:41]
	v_fma_f64 v[12:13], v[94:95], -0.5, v[12:13]
	v_add3_u32 v114, 0, v114, v78
	v_add_f64 v[78:79], v[92:93], v[124:125]
	v_add_f64 v[86:87], v[110:111], v[130:131]
	;; [unrolled: 1-line block ×5, first 2 shown]
	v_lshlrev_b32_e32 v96, 5, v21
	v_add3_u32 v108, 0, v116, v119
	v_lshlrev_b32_e32 v97, 5, v22
	v_add3_u32 v109, 0, v117, v121
	v_lshlrev_b32_e32 v98, 5, v23
	v_lshlrev_b32_e32 v99, 5, v24
	v_add3_u32 v110, 0, v118, v30
	buffer_gl0_inv
	v_mul_lo_u16 v18, v18, 19
	v_add_f64 v[14:15], v[14:15], v[52:53]
	v_fma_f64 v[88:89], v[112:113], s[0:1], v[4:5]
	v_fma_f64 v[4:5], v[112:113], s[6:7], v[4:5]
	;; [unrolled: 1-line block ×10, first 2 shown]
	v_and_b32_e32 v19, 0xffff, v19
	v_lshlrev_b32_e32 v24, 3, v24
	v_add_f64 v[52:53], v[32:33], v[54:55]
	v_add_f64 v[54:55], v[56:57], v[60:61]
	v_fma_f64 v[60:61], v[2:3], s[6:7], v[34:35]
	v_add_f64 v[56:57], v[58:59], v[62:63]
	v_fma_f64 v[62:63], v[2:3], s[0:1], v[34:35]
	;; [unrolled: 2-line block ×3, first 2 shown]
	v_fma_f64 v[66:67], v[66:67], s[0:1], v[36:37]
	v_fma_f64 v[68:69], v[42:43], s[6:7], v[38:39]
	;; [unrolled: 1-line block ×7, first 2 shown]
	v_add3_u32 v50, 0, v115, v31
	ds_store_2addr_b64 v114, v[78:79], v[88:89] offset1:3
	ds_store_b64 v114, v[4:5] offset:48
	ds_store_2addr_b64 v108, v[84:85], v[90:91] offset1:3
	ds_store_b64 v108, v[6:7] offset:48
	;; [unrolled: 2-line block ×5, first 2 shown]
	s_waitcnt lgkmcnt(0)
	s_barrier
	buffer_gl0_inv
	ds_load_2addr_b64 v[4:7], v103 offset1:63
	ds_load_2addr_b64 v[0:3], v16 offset0:124 offset1:187
	ds_load_2addr_b64 v[30:33], v104 offset0:118 offset1:181
	;; [unrolled: 1-line block ×6, first 2 shown]
	ds_load_b64 v[78:79], v103 offset:7056
	s_waitcnt lgkmcnt(0)
	s_barrier
	buffer_gl0_inv
	ds_store_2addr_b64 v114, v[14:15], v[60:61] offset1:3
	ds_store_b64 v114, v[62:63] offset:48
	ds_store_2addr_b64 v108, v[52:53], v[64:65] offset1:3
	ds_store_b64 v108, v[66:67] offset:48
	;; [unrolled: 2-line block ×5, first 2 shown]
	s_waitcnt lgkmcnt(0)
	s_barrier
	buffer_gl0_inv
	s_clause 0x9
	global_load_b128 v[46:49], v120, s[4:5] offset:112
	global_load_b128 v[50:53], v120, s[4:5] offset:96
	;; [unrolled: 1-line block ×10, first 2 shown]
	ds_load_2addr_b64 v[92:95], v104 offset0:118 offset1:181
	ds_load_2addr_b64 v[12:15], v16 offset0:124 offset1:187
	;; [unrolled: 1-line block ×5, first 2 shown]
	ds_load_b64 v[116:117], v103 offset:7056
	s_waitcnt vmcnt(9) lgkmcnt(5)
	v_mul_f64 v[118:119], v[92:93], v[48:49]
	s_waitcnt vmcnt(8) lgkmcnt(4)
	v_mul_f64 v[120:121], v[14:15], v[52:53]
	v_mul_f64 v[48:49], v[30:31], v[48:49]
	;; [unrolled: 1-line block ×3, first 2 shown]
	s_waitcnt vmcnt(7)
	v_mul_f64 v[122:123], v[94:95], v[56:57]
	s_waitcnt vmcnt(6) lgkmcnt(3)
	v_mul_f64 v[124:125], v[96:97], v[60:61]
	s_waitcnt vmcnt(5)
	v_mul_f64 v[126:127], v[98:99], v[64:65]
	s_waitcnt vmcnt(4) lgkmcnt(2)
	v_mul_f64 v[128:129], v[108:109], v[68:69]
	s_waitcnt vmcnt(1) lgkmcnt(1)
	;; [unrolled: 2-line block ×3, first 2 shown]
	v_mul_f64 v[136:137], v[116:117], v[90:91]
	v_mul_f64 v[130:131], v[110:111], v[72:73]
	v_mul_f64 v[132:133], v[112:113], v[76:77]
	v_mul_f64 v[56:57], v[32:33], v[56:57]
	v_mul_f64 v[60:61], v[34:35], v[60:61]
	v_mul_f64 v[64:65], v[36:37], v[64:65]
	v_mul_f64 v[68:69], v[38:39], v[68:69]
	v_mul_f64 v[72:73], v[40:41], v[72:73]
	v_mul_f64 v[76:77], v[42:43], v[76:77]
	v_mul_f64 v[86:87], v[44:45], v[86:87]
	v_mul_f64 v[90:91], v[78:79], v[90:91]
	v_fma_f64 v[118:119], v[30:31], v[46:47], -v[118:119]
	v_fma_f64 v[120:121], v[2:3], v[50:51], -v[120:121]
	v_fma_f64 v[46:47], v[92:93], v[46:47], v[48:49]
	v_fma_f64 v[14:15], v[14:15], v[50:51], v[52:53]
	v_fma_f64 v[122:123], v[32:33], v[54:55], -v[122:123]
	v_fma_f64 v[34:35], v[34:35], v[58:59], -v[124:125]
	;; [unrolled: 1-line block ×8, first 2 shown]
	v_fma_f64 v[48:49], v[94:95], v[54:55], v[56:57]
	v_fma_f64 v[50:51], v[96:97], v[58:59], v[60:61]
	;; [unrolled: 1-line block ×8, first 2 shown]
	v_mul_lo_u16 v3, v17, 19
	v_mul_u32_u24_e32 v112, 0xd8, v19
	v_and_b32_e32 v113, 0xffff, v28
	v_mul_u32_u24_e32 v114, 0xd8, v29
	ds_load_2addr_b64 v[30:33], v103 offset0:126 offset1:189
	v_lshrrev_b16 v17, 9, v3
	v_lshrrev_b16 v3, 9, v18
	v_and_b32_e32 v18, 0xffff, v26
	v_and_b32_e32 v26, 0xffff, v27
	v_mul_lo_u16 v2, v20, 19
	v_mul_lo_u16 v115, v17, 27
	;; [unrolled: 1-line block ×3, first 2 shown]
	v_mul_u32_u24_e32 v117, 0xd8, v18
	v_mul_u32_u24_e32 v124, 0xd8, v26
	ds_load_2addr_b64 v[26:29], v103 offset1:63
	v_lshrrev_b16 v2, 9, v2
	s_waitcnt lgkmcnt(0)
	s_barrier
	buffer_gl0_inv
	v_add_f64 v[64:65], v[120:121], v[118:119]
	v_add_f64 v[86:87], v[4:5], v[120:121]
	;; [unrolled: 1-line block ×3, first 2 shown]
	v_add_f64 v[98:99], v[14:15], -v[46:47]
	v_add_f64 v[66:67], v[34:35], v[122:123]
	v_add_f64 v[90:91], v[6:7], v[34:35]
	;; [unrolled: 1-line block ×9, first 2 shown]
	v_add_f64 v[108:109], v[50:51], -v[48:49]
	v_add_f64 v[76:77], v[52:53], v[54:55]
	v_add_f64 v[110:111], v[52:53], -v[54:55]
	v_add_f64 v[84:85], v[58:59], v[56:57]
	v_add_f64 v[14:15], v[26:27], v[14:15]
	v_add_f64 v[88:89], v[60:61], v[62:63]
	v_add_f64 v[52:53], v[30:31], v[52:53]
	v_add_f64 v[50:51], v[28:29], v[50:51]
	v_mul_lo_u16 v20, v2, 27
	v_and_b32_e32 v2, 0xffff, v2
	v_and_b32_e32 v3, 0xffff, v3
	s_delay_alu instid0(VALU_DEP_3) | instskip(NEXT) | instid1(VALU_DEP_3)
	v_sub_nc_u16 v20, v100, v20
	v_mul_u32_u24_e32 v2, 0x438, v2
	s_delay_alu instid0(VALU_DEP_3) | instskip(SKIP_1) | instid1(VALU_DEP_4)
	v_mul_u32_u24_e32 v3, 0x438, v3
	v_fma_f64 v[64:65], v[64:65], -0.5, v[4:5]
	v_and_b32_e32 v4, 0xff, v20
	v_fma_f64 v[18:19], v[18:19], -0.5, v[26:27]
	v_mul_u32_u24_e32 v20, 0xd8, v113
	v_fma_f64 v[66:67], v[66:67], -0.5, v[6:7]
	v_sub_nc_u16 v5, v102, v115
	v_fma_f64 v[7:8], v[68:69], -0.5, v[8:9]
	v_add_f64 v[68:69], v[58:59], -v[56:57]
	v_fma_f64 v[0:1], v[72:73], -0.5, v[0:1]
	v_add_f64 v[72:73], v[120:121], -v[118:119]
	v_fma_f64 v[9:10], v[70:71], -0.5, v[10:11]
	v_lshlrev_b32_e32 v11, 3, v25
	v_add_f64 v[58:59], v[32:33], v[58:59]
	v_add_f64 v[25:26], v[34:35], -v[122:123]
	v_fma_f64 v[27:28], v[74:75], -0.5, v[28:29]
	v_add_f64 v[70:71], v[60:61], -v[62:63]
	v_add_f64 v[60:61], v[12:13], v[60:61]
	v_add_f64 v[34:35], v[36:37], -v[38:39]
	v_fma_f64 v[29:30], v[76:77], -0.5, v[30:31]
	v_add_f64 v[36:37], v[42:43], -v[40:41]
	v_fma_f64 v[31:32], v[84:85], -0.5, v[32:33]
	v_add3_u32 v112, 0, v112, v11
	v_add_f64 v[42:43], v[44:45], -v[78:79]
	v_fma_f64 v[11:12], v[88:89], -0.5, v[12:13]
	v_lshlrev_b32_e32 v13, 3, v21
	v_lshlrev_b32_e32 v21, 3, v22
	;; [unrolled: 1-line block ×3, first 2 shown]
	v_add_f64 v[44:45], v[86:87], v[118:119]
	v_add_f64 v[40:41], v[94:95], v[40:41]
	;; [unrolled: 1-line block ×3, first 2 shown]
	v_add3_u32 v94, 0, v117, v13
	v_add_f64 v[13:14], v[14:15], v[46:47]
	v_add_f64 v[46:47], v[52:53], v[54:55]
	;; [unrolled: 1-line block ×3, first 2 shown]
	v_add3_u32 v96, 0, v20, v22
	v_add_f64 v[22:23], v[50:51], v[48:49]
	v_add_f64 v[38:39], v[92:93], v[38:39]
	v_sub_nc_u16 v6, v101, v116
	v_fma_f64 v[78:79], v[98:99], s[0:1], v[64:65]
	v_fma_f64 v[64:65], v[98:99], s[6:7], v[64:65]
	v_and_b32_e32 v5, 0xff, v5
	v_lshlrev_b32_e32 v113, 6, v4
	v_fma_f64 v[84:85], v[108:109], s[0:1], v[66:67]
	v_fma_f64 v[66:67], v[108:109], s[6:7], v[66:67]
	;; [unrolled: 1-line block ×4, first 2 shown]
	v_and_b32_e32 v6, 0xff, v6
	v_fma_f64 v[52:53], v[72:73], s[6:7], v[18:19]
	v_fma_f64 v[54:55], v[72:73], s[0:1], v[18:19]
	v_fma_f64 v[88:89], v[68:69], s[0:1], v[9:10]
	v_add_f64 v[48:49], v[58:59], v[56:57]
	v_fma_f64 v[9:10], v[68:69], s[6:7], v[9:10]
	v_fma_f64 v[56:57], v[25:26], s[6:7], v[27:28]
	;; [unrolled: 1-line block ×3, first 2 shown]
	v_add_f64 v[50:51], v[60:61], v[62:63]
	v_fma_f64 v[68:69], v[70:71], s[0:1], v[0:1]
	v_fma_f64 v[60:61], v[34:35], s[6:7], v[29:30]
	;; [unrolled: 1-line block ×8, first 2 shown]
	v_lshlrev_b32_e32 v92, 6, v5
	v_add3_u32 v95, 0, v124, v21
	v_lshlrev_b32_e32 v93, 6, v6
	v_add3_u32 v15, 0, v114, v24
	ds_store_2addr_b64 v112, v[44:45], v[78:79] offset1:9
	ds_store_b64 v112, v[64:65] offset:144
	ds_store_2addr_b64 v94, v[74:75], v[84:85] offset1:9
	ds_store_b64 v94, v[66:67] offset:144
	ds_store_2addr_b64 v95, v[38:39], v[86:87] offset1:9
	ds_store_b64 v95, v[7:8] offset:144
	ds_store_2addr_b64 v96, v[40:41], v[88:89] offset1:9
	ds_store_b64 v96, v[9:10] offset:144
	ds_store_2addr_b64 v15, v[76:77], v[68:69] offset1:9
	ds_store_b64 v15, v[0:1] offset:144
	s_waitcnt lgkmcnt(0)
	s_barrier
	buffer_gl0_inv
	ds_load_2addr_b64 v[7:10], v103 offset1:63
	ds_load_2addr_b64 v[24:27], v103 offset0:126 offset1:189
	ds_load_2addr_b64 v[18:21], v105 offset0:122 offset1:185
	;; [unrolled: 1-line block ×6, first 2 shown]
	ds_load_b64 v[0:1], v103 offset:7056
	s_waitcnt lgkmcnt(0)
	s_barrier
	buffer_gl0_inv
	ds_store_2addr_b64 v112, v[13:14], v[52:53] offset1:9
	ds_store_b64 v112, v[54:55] offset:144
	ds_store_2addr_b64 v94, v[22:23], v[56:57] offset1:9
	ds_store_b64 v94, v[58:59] offset:144
	;; [unrolled: 2-line block ×5, first 2 shown]
	s_waitcnt lgkmcnt(0)
	s_barrier
	buffer_gl0_inv
	s_clause 0xb
	global_load_b128 v[44:47], v113, s[4:5] offset:400
	global_load_b128 v[48:51], v92, s[4:5] offset:400
	global_load_b128 v[52:55], v113, s[4:5] offset:432
	global_load_b128 v[56:59], v113, s[4:5] offset:416
	global_load_b128 v[60:63], v113, s[4:5] offset:384
	global_load_b128 v[68:71], v92, s[4:5] offset:432
	global_load_b128 v[84:87], v92, s[4:5] offset:416
	global_load_b128 v[94:97], v92, s[4:5] offset:384
	global_load_b128 v[108:111], v93, s[4:5] offset:384
	global_load_b128 v[112:115], v93, s[4:5] offset:400
	global_load_b128 v[116:119], v93, s[4:5] offset:432
	global_load_b128 v[120:123], v93, s[4:5] offset:416
	ds_load_2addr_b64 v[124:127], v105 offset0:122 offset1:185
	ds_load_2addr_b64 v[128:131], v106 offset0:116 offset1:179
	;; [unrolled: 1-line block ×6, first 2 shown]
	ds_load_b64 v[144:145], v103 offset:7056
	s_mov_b32 s6, 0x134454ff
	s_mov_b32 s7, 0x3fee6f0e
	;; [unrolled: 1-line block ×3, first 2 shown]
	v_and_b32_e32 v11, 0xffff, v17
	v_lshlrev_b32_e32 v4, 3, v4
	v_lshlrev_b32_e32 v5, 3, v5
	;; [unrolled: 1-line block ×3, first 2 shown]
	v_cmp_gt_u32_e64 s0, 9, v100
	v_mul_u32_u24_e32 v11, 0x438, v11
	s_waitcnt vmcnt(11) lgkmcnt(6)
	v_mul_f64 v[22:23], v[124:125], v[46:47]
	s_waitcnt vmcnt(10)
	v_mul_f64 v[64:65], v[126:127], v[50:51]
	s_waitcnt vmcnt(9) lgkmcnt(5)
	v_mul_f64 v[66:67], v[128:129], v[54:55]
	s_waitcnt vmcnt(8) lgkmcnt(4)
	;; [unrolled: 2-line block ×3, first 2 shown]
	v_mul_f64 v[74:75], v[14:15], v[62:63]
	s_waitcnt vmcnt(6)
	v_mul_f64 v[76:77], v[130:131], v[70:71]
	s_waitcnt vmcnt(5) lgkmcnt(2)
	v_mul_f64 v[78:79], v[136:137], v[86:87]
	s_waitcnt vmcnt(4) lgkmcnt(1)
	v_mul_f64 v[88:89], v[140:141], v[96:97]
	s_waitcnt vmcnt(3)
	v_mul_f64 v[90:91], v[142:143], v[110:111]
	s_waitcnt vmcnt(2)
	v_mul_f64 v[98:99], v[132:133], v[114:115]
	s_waitcnt vmcnt(1) lgkmcnt(0)
	v_mul_f64 v[146:147], v[144:145], v[118:119]
	s_waitcnt vmcnt(0)
	v_mul_f64 v[148:149], v[138:139], v[122:123]
	v_mul_f64 v[54:55], v[32:33], v[54:55]
	;; [unrolled: 1-line block ×12, first 2 shown]
	v_fma_f64 v[62:63], v[18:19], v[44:45], -v[22:23]
	v_fma_f64 v[58:59], v[20:21], v[48:49], -v[64:65]
	;; [unrolled: 1-line block ×8, first 2 shown]
	v_mul_f64 v[26:27], v[0:1], v[118:119]
	v_fma_f64 v[76:77], v[38:39], v[108:109], -v[90:91]
	v_fma_f64 v[70:71], v[28:29], v[112:113], -v[98:99]
	;; [unrolled: 1-line block ×4, first 2 shown]
	v_fma_f64 v[18:19], v[128:129], v[52:53], v[54:55]
	v_fma_f64 v[78:79], v[14:15], v[60:61], v[154:155]
	;; [unrolled: 1-line block ×11, first 2 shown]
	v_add_f64 v[0:1], v[62:63], v[64:65]
	v_add_f64 v[14:15], v[72:73], v[66:67]
	;; [unrolled: 1-line block ×5, first 2 shown]
	v_fma_f64 v[96:97], v[144:145], v[116:117], v[26:27]
	v_add_f64 v[44:45], v[9:10], v[92:93]
	v_add_f64 v[46:47], v[24:25], v[76:77]
	;; [unrolled: 1-line block ×4, first 2 shown]
	v_add_f64 v[52:53], v[66:67], -v[64:65]
	v_add_f64 v[40:41], v[78:79], -v[18:19]
	;; [unrolled: 1-line block ×15, first 2 shown]
	v_fma_f64 v[0:1], v[0:1], -0.5, v[7:8]
	v_fma_f64 v[7:8], v[14:15], -0.5, v[7:8]
	v_add_f64 v[14:15], v[68:69], -v[20:21]
	v_fma_f64 v[32:33], v[32:33], -0.5, v[9:10]
	v_fma_f64 v[9:10], v[34:35], -0.5, v[9:10]
	v_add_f64 v[34:35], v[60:61], -v[96:97]
	v_add_f64 v[38:39], v[38:39], v[62:63]
	v_add_f64 v[44:45], v[44:45], v[58:59]
	v_fma_f64 v[26:27], v[26:27], -0.5, v[24:25]
	v_fma_f64 v[24:25], v[36:37], -0.5, v[24:25]
	v_add_f64 v[36:37], v[72:73], -v[62:63]
	v_add_f64 v[46:47], v[46:47], v[70:71]
	v_fma_f64 v[124:125], v[40:41], s[6:7], v[0:1]
	v_fma_f64 v[126:127], v[42:43], s[8:9], v[7:8]
	;; [unrolled: 1-line block ×12, first 2 shown]
	v_add_f64 v[36:37], v[36:37], v[52:53]
	v_add_f64 v[52:53], v[54:55], v[84:85]
	;; [unrolled: 1-line block ×9, first 2 shown]
	v_fma_f64 v[112:113], v[42:43], s[12:13], v[124:125]
	v_fma_f64 v[114:115], v[40:41], s[12:13], v[126:127]
	;; [unrolled: 1-line block ×12, first 2 shown]
	v_add_f64 v[34:35], v[38:39], v[66:67]
	v_add_f64 v[38:39], v[44:45], v[86:87]
	;; [unrolled: 1-line block ×3, first 2 shown]
	v_fma_f64 v[46:47], v[36:37], s[16:17], v[112:113]
	v_fma_f64 v[50:51], v[52:53], s[16:17], v[114:115]
	v_fma_f64 v[7:8], v[52:53], s[16:17], v[7:8]
	v_fma_f64 v[36:37], v[36:37], s[16:17], v[0:1]
	v_fma_f64 v[40:41], v[54:55], s[16:17], v[40:41]
	v_fma_f64 v[42:43], v[84:85], s[16:17], v[42:43]
	v_fma_f64 v[9:10], v[84:85], s[16:17], v[9:10]
	v_fma_f64 v[32:33], v[54:55], s[16:17], v[32:33]
	v_fma_f64 v[52:53], v[108:109], s[16:17], v[14:15]
	v_fma_f64 v[48:49], v[110:111], s[16:17], v[48:49]
	v_fma_f64 v[26:27], v[108:109], s[16:17], v[26:27]
	v_fma_f64 v[0:1], v[110:111], s[16:17], v[24:25]
	v_add3_u32 v111, 0, v2, v4
	v_add3_u32 v110, 0, v11, v5
	v_add_nc_u32_e32 v108, 0x1800, v103
	v_add3_u32 v109, 0, v3, v6
	ds_load_2addr_b64 v[14:17], v103 offset1:63
	s_waitcnt lgkmcnt(0)
	s_barrier
	buffer_gl0_inv
	ds_store_2addr_b64 v111, v[34:35], v[46:47] offset1:27
	ds_store_2addr_b64 v111, v[50:51], v[7:8] offset0:54 offset1:81
	ds_store_b64 v111, v[36:37] offset:864
	ds_store_2addr_b64 v110, v[38:39], v[40:41] offset1:27
	ds_store_2addr_b64 v110, v[42:43], v[9:10] offset0:54 offset1:81
	ds_store_b64 v110, v[32:33] offset:864
	;; [unrolled: 3-line block ×3, first 2 shown]
	s_waitcnt lgkmcnt(0)
	s_barrier
	buffer_gl0_inv
	ds_load_2addr_b64 v[24:27], v103 offset1:63
	ds_load_2addr_b64 v[40:43], v103 offset0:135 offset1:198
	ds_load_2addr_b64 v[44:47], v105 offset0:14 offset1:77
	;; [unrolled: 1-line block ×6, first 2 shown]
                                        ; implicit-def: $vgpr84_vgpr85
                                        ; implicit-def: $vgpr6_vgpr7
                                        ; implicit-def: $vgpr10_vgpr11
	s_and_saveexec_b32 s1, s0
	s_cbranch_execz .LBB0_15
; %bb.14:
	v_add_nc_u32_e32 v0, 0x200, v103
	ds_load_2addr_b64 v[8:11], v107 offset0:12 offset1:147
	ds_load_2addr_b64 v[4:7], v106 offset0:26 offset1:161
	;; [unrolled: 1-line block ×3, first 2 shown]
	ds_load_b64 v[84:85], v103 offset:7488
.LBB0_15:
	s_or_b32 exec_lo, exec_lo, s1
	v_add_f64 v[106:107], v[28:29], v[22:23]
	v_add_f64 v[112:113], v[78:79], v[18:19]
	;; [unrolled: 1-line block ×7, first 2 shown]
	v_add_f64 v[66:67], v[72:73], -v[66:67]
	v_add_f64 v[62:63], v[62:63], -v[64:65]
	v_add_f64 v[64:65], v[16:17], v[68:69]
	v_add_f64 v[72:73], v[12:13], v[60:61]
	v_add_f64 v[86:87], v[92:93], -v[86:87]
	v_add_f64 v[58:59], v[58:59], -v[74:75]
	;; [unrolled: 1-line block ×9, first 2 shown]
	s_waitcnt lgkmcnt(0)
	s_barrier
	buffer_gl0_inv
	v_fma_f64 v[106:107], v[106:107], -0.5, v[14:15]
	v_fma_f64 v[14:15], v[112:113], -0.5, v[14:15]
	;; [unrolled: 1-line block ×6, first 2 shown]
	v_add_f64 v[114:115], v[68:69], -v[30:31]
	v_add_f64 v[68:69], v[30:31], -v[68:69]
	v_add_f64 v[28:29], v[122:123], v[28:29]
	v_add_f64 v[30:31], v[64:65], v[30:31]
	;; [unrolled: 1-line block ×3, first 2 shown]
	v_add_f64 v[112:113], v[22:23], -v[18:19]
	v_add_f64 v[120:121], v[60:61], -v[94:95]
	;; [unrolled: 1-line block ×5, first 2 shown]
	v_add_f64 v[90:91], v[90:91], v[92:93]
	v_fma_f64 v[72:73], v[66:67], s[8:9], v[106:107]
	v_fma_f64 v[94:95], v[66:67], s[6:7], v[106:107]
	;; [unrolled: 1-line block ×12, first 2 shown]
	v_add_f64 v[22:23], v[28:29], v[22:23]
	v_add_f64 v[28:29], v[30:31], v[56:57]
	;; [unrolled: 1-line block ×8, first 2 shown]
	v_fma_f64 v[56:57], v[62:63], s[14:15], v[72:73]
	v_fma_f64 v[62:63], v[62:63], s[12:13], v[94:95]
	;; [unrolled: 1-line block ×12, first 2 shown]
	v_add_f64 v[18:19], v[22:23], v[18:19]
	v_add_f64 v[20:21], v[28:29], v[20:21]
	;; [unrolled: 1-line block ×3, first 2 shown]
	v_fma_f64 v[28:29], v[90:91], s[16:17], v[56:57]
	v_fma_f64 v[30:31], v[90:91], s[16:17], v[62:63]
	;; [unrolled: 1-line block ×12, first 2 shown]
                                        ; implicit-def: $vgpr86_vgpr87
	ds_store_2addr_b64 v111, v[18:19], v[28:29] offset1:27
	ds_store_2addr_b64 v111, v[56:57], v[14:15] offset0:54 offset1:81
	ds_store_b64 v111, v[30:31] offset:864
	ds_store_2addr_b64 v110, v[20:21], v[62:63] offset1:27
	ds_store_2addr_b64 v110, v[64:65], v[16:17] offset0:54 offset1:81
	ds_store_b64 v110, v[58:59] offset:864
	ds_store_2addr_b64 v109, v[22:23], v[66:67] offset1:27
	ds_store_2addr_b64 v109, v[68:69], v[60:61] offset0:54 offset1:81
	ds_store_b64 v109, v[12:13] offset:864
	s_waitcnt lgkmcnt(0)
	s_barrier
	buffer_gl0_inv
	ds_load_2addr_b64 v[28:31], v103 offset1:63
	ds_load_2addr_b64 v[64:67], v103 offset0:135 offset1:198
	ds_load_2addr_b64 v[68:71], v105 offset0:14 offset1:77
	;; [unrolled: 1-line block ×6, first 2 shown]
                                        ; implicit-def: $vgpr18_vgpr19
                                        ; implicit-def: $vgpr22_vgpr23
	s_and_saveexec_b32 s1, s0
	s_cbranch_execz .LBB0_17
; %bb.16:
	v_add_nc_u32_e32 v12, 0x200, v103
	v_add_nc_u32_e32 v16, 0xc00, v103
	;; [unrolled: 1-line block ×3, first 2 shown]
	ds_load_2addr_b64 v[12:15], v12 offset0:62 offset1:197
	ds_load_2addr_b64 v[20:23], v16 offset0:12 offset1:147
	;; [unrolled: 1-line block ×3, first 2 shown]
	ds_load_b64 v[86:87], v103 offset:7488
.LBB0_17:
	s_or_b32 exec_lo, exec_lo, s1
	s_and_saveexec_b32 s1, vcc_lo
	s_cbranch_execz .LBB0_20
; %bb.18:
	v_mul_u32_u24_e32 v88, 6, v102
	v_mul_u32_u24_e32 v96, 6, v100
	s_mov_b32 s8, 0xe976ee23
	s_mov_b32 s12, 0x36b3c0b5
	s_mov_b32 s24, 0x37e14327
	v_lshlrev_b32_e32 v126, 4, v88
	v_lshlrev_b32_e32 v134, 4, v96
	s_mov_b32 s22, 0x429ad128
	s_mov_b32 s9, 0xbfe11646
	;; [unrolled: 1-line block ×3, first 2 shown]
	s_clause 0xb
	global_load_b128 v[88:91], v126, s[4:5] offset:2128
	global_load_b128 v[92:95], v126, s[4:5] offset:2176
	;; [unrolled: 1-line block ×12, first 2 shown]
	s_mov_b32 s25, 0x3fe948f6
	s_mov_b32 s23, 0x3febfeb5
	;; [unrolled: 1-line block ×12, first 2 shown]
	s_waitcnt vmcnt(9)
	v_mul_f64 v[142:143], v[42:43], v[98:99]
	s_waitcnt vmcnt(8)
	v_mul_f64 v[144:145], v[50:51], v[104:105]
	s_waitcnt lgkmcnt(5)
	v_mul_f64 v[98:99], v[66:67], v[98:99]
	s_waitcnt lgkmcnt(0)
	v_mul_f64 v[104:105], v[74:75], v[104:105]
	s_waitcnt vmcnt(7)
	v_mul_f64 v[146:147], v[44:45], v[108:109]
	s_waitcnt vmcnt(6)
	;; [unrolled: 2-line block ×3, first 2 shown]
	v_mul_f64 v[150:151], v[40:41], v[116:117]
	v_mul_f64 v[138:139], v[70:71], v[90:91]
	;; [unrolled: 1-line block ×5, first 2 shown]
	s_waitcnt vmcnt(4)
	v_mul_f64 v[152:153], v[48:49], v[120:121]
	v_mul_f64 v[108:109], v[68:69], v[108:109]
	;; [unrolled: 1-line block ×5, first 2 shown]
	s_waitcnt vmcnt(3)
	v_mul_f64 v[154:155], v[58:59], v[124:125]
	s_waitcnt vmcnt(2)
	v_mul_f64 v[156:157], v[62:63], v[128:129]
	v_mul_f64 v[128:129], v[34:35], v[128:129]
	;; [unrolled: 1-line block ×3, first 2 shown]
	s_waitcnt vmcnt(1)
	v_mul_f64 v[158:159], v[56:57], v[132:133]
	s_waitcnt vmcnt(0)
	v_mul_f64 v[160:161], v[60:61], v[136:137]
	v_mul_f64 v[136:137], v[32:33], v[136:137]
	;; [unrolled: 1-line block ×3, first 2 shown]
	v_fma_f64 v[66:67], v[66:67], v[96:97], v[142:143]
	v_fma_f64 v[74:75], v[74:75], v[102:103], v[144:145]
	v_fma_f64 v[42:43], v[42:43], v[96:97], -v[98:99]
	v_fma_f64 v[50:51], v[50:51], v[102:103], -v[104:105]
	v_fma_f64 v[68:69], v[68:69], v[106:107], v[146:147]
	v_fma_f64 v[76:77], v[76:77], v[110:111], v[148:149]
	v_fma_f64 v[64:65], v[64:65], v[114:115], v[150:151]
	v_fma_f64 v[46:47], v[46:47], v[88:89], -v[138:139]
	v_fma_f64 v[70:71], v[70:71], v[88:89], v[90:91]
	v_fma_f64 v[54:55], v[54:55], v[92:93], -v[140:141]
	v_fma_f64 v[78:79], v[78:79], v[92:93], v[94:95]
	v_fma_f64 v[72:73], v[72:73], v[118:119], v[152:153]
	v_fma_f64 v[44:45], v[44:45], v[106:107], -v[108:109]
	v_fma_f64 v[52:53], v[52:53], v[110:111], -v[112:113]
	;; [unrolled: 1-line block ×6, first 2 shown]
	v_fma_f64 v[62:63], v[62:63], v[126:127], v[128:129]
	v_fma_f64 v[58:59], v[58:59], v[122:123], v[124:125]
	v_fma_f64 v[36:37], v[36:37], v[130:131], -v[158:159]
	v_fma_f64 v[32:33], v[32:33], v[134:135], -v[160:161]
	v_fma_f64 v[60:61], v[60:61], v[134:135], v[136:137]
	v_fma_f64 v[56:57], v[56:57], v[130:131], v[132:133]
	v_mul_lo_u32 v112, s3, v82
	v_mul_lo_u32 v113, s2, v83
	v_mad_u64_u32 v[106:107], null, s2, v82, 0
	v_add_nc_u32_e32 v130, 63, v100
	v_mul_hi_u32 v118, 0xf2b9d649, v100
	s_mov_b32 s2, 0x37c3f68c
	s_mov_b32 s3, 0x3fdc38aa
	s_delay_alu instid0(VALU_DEP_2) | instskip(NEXT) | instid1(VALU_DEP_4)
	v_mul_hi_u32 v119, 0xf2b9d649, v130
	v_add3_u32 v107, v107, v113, v112
	s_delay_alu instid0(VALU_DEP_3)
	v_lshrrev_b32_e32 v122, 7, v118
	v_add_f64 v[90:91], v[66:67], v[74:75]
	v_add_f64 v[66:67], v[66:67], -v[74:75]
	v_add_f64 v[94:95], v[42:43], v[50:51]
	v_add_f64 v[42:43], v[42:43], -v[50:51]
	v_add_f64 v[96:97], v[68:69], v[76:77]
	v_lshrrev_b32_e32 v135, 7, v119
	v_mul_lo_u32 v128, 0x87, v122
	v_lshlrev_b64 v[106:107], 4, v[106:107]
	v_add_f64 v[92:93], v[46:47], v[54:55]
	v_add_f64 v[88:89], v[70:71], v[78:79]
	;; [unrolled: 1-line block ×3, first 2 shown]
	v_add_f64 v[46:47], v[46:47], -v[54:55]
	v_add_f64 v[102:103], v[44:45], v[52:53]
	v_add_f64 v[44:45], v[44:45], -v[52:53]
	v_add_f64 v[104:105], v[40:41], v[48:49]
	v_add_f64 v[40:41], v[40:41], -v[48:49]
	v_add_f64 v[82:83], v[38:39], -v[34:35]
	v_add_f64 v[34:35], v[38:39], v[34:35]
	v_add_f64 v[54:55], v[58:59], v[62:63]
	v_add_f64 v[38:39], v[58:59], -v[62:63]
	v_add_f64 v[58:59], v[70:71], -v[78:79]
	;; [unrolled: 1-line block ×3, first 2 shown]
	v_add_f64 v[70:71], v[56:57], v[60:61]
	v_add_f64 v[36:37], v[36:37], v[32:33]
	v_add_f64 v[56:57], v[56:57], -v[60:61]
	v_add_f64 v[60:61], v[68:69], -v[76:77]
	;; [unrolled: 1-line block ×3, first 2 shown]
	v_lshlrev_b64 v[72:73], 4, v[80:81]
	v_add_co_u32 v133, s1, s10, v106
	v_mul_lo_u32 v131, 0x87, v135
	v_add_co_ci_u32_e64 v134, s1, s11, v107, s1
	v_sub_nc_u32_e32 v136, v100, v128
	v_dual_mov_b32 v32, 0 :: v_dual_add_nc_u32 v33, 0x7e, v100
	s_delay_alu instid0(VALU_DEP_4) | instskip(NEXT) | instid1(VALU_DEP_3)
	v_sub_nc_u32_e32 v130, v130, v131
	v_lshlrev_b32_e32 v136, 4, v136
	s_delay_alu instid0(VALU_DEP_3)
	v_cmp_gt_u32_e32 vcc_lo, 0x87, v33
	v_add_f64 v[62:63], v[92:93], v[94:95]
	v_add_f64 v[52:53], v[88:89], v[90:91]
	;; [unrolled: 1-line block ×3, first 2 shown]
	v_add_f64 v[108:109], v[46:47], -v[42:43]
	v_add_f64 v[68:69], v[102:103], v[104:105]
	v_add_f64 v[114:115], v[44:45], -v[40:41]
	v_add_f64 v[74:75], v[82:83], -v[46:47]
	;; [unrolled: 1-line block ×13, first 2 shown]
	v_add_f64 v[46:47], v[82:83], v[46:47]
	v_add_f64 v[82:83], v[42:43], -v[82:83]
	v_add_f64 v[58:59], v[38:39], v[58:59]
	v_add_f64 v[38:39], v[66:67], -v[38:39]
	v_add_f64 v[44:45], v[50:51], v[44:45]
	v_add_f64 v[60:61], v[56:57], v[60:61]
	v_add_f64 v[88:89], v[88:89], -v[90:91]
	v_add_f64 v[50:51], v[40:41], -v[50:51]
	;; [unrolled: 1-line block ×5, first 2 shown]
	v_add_f64 v[52:53], v[54:55], v[52:53]
	v_add_f64 v[54:55], v[34:35], v[62:63]
	v_add_f64 v[62:63], v[98:99], -v[70:71]
	v_add_f64 v[48:49], v[70:71], v[48:49]
	v_add_f64 v[70:71], v[70:71], -v[96:97]
	v_add_f64 v[68:69], v[36:37], v[68:69]
	v_mul_f64 v[106:107], v[108:109], s[22:23]
	v_mul_f64 v[74:75], v[74:75], s[8:9]
	v_add_f64 v[96:97], v[96:97], -v[98:99]
	v_mul_f64 v[76:77], v[76:77], s[24:25]
	v_mul_f64 v[90:91], v[110:111], s[12:13]
	;; [unrolled: 1-line block ×11, first 2 shown]
	v_add_f64 v[42:43], v[46:47], v[42:43]
	v_add_f64 v[46:47], v[58:59], v[66:67]
	;; [unrolled: 1-line block ×6, first 2 shown]
	v_mul_f64 v[30:31], v[62:63], s[24:25]
	v_mul_f64 v[62:63], v[114:115], s[22:23]
	v_add_f64 v[28:29], v[28:29], v[48:49]
	v_mul_f64 v[98:99], v[70:71], s[12:13]
	v_add_f64 v[26:27], v[24:25], v[68:69]
	v_add_co_u32 v24, s1, v133, v72
	s_delay_alu instid0(VALU_DEP_1)
	v_add_co_ci_u32_e64 v25, s1, v134, v73, s1
	v_fma_f64 v[58:59], v[82:83], s[6:7], v[74:75]
	v_fma_f64 v[60:61], v[110:111], s[12:13], v[76:77]
	;; [unrolled: 1-line block ×3, first 2 shown]
	v_fma_f64 v[72:73], v[82:83], s[20:21], -v[106:107]
	v_fma_f64 v[76:77], v[88:89], s[18:19], -v[76:77]
	;; [unrolled: 1-line block ×3, first 2 shown]
	v_fma_f64 v[88:89], v[50:51], s[6:7], v[112:113]
	v_fma_f64 v[74:75], v[108:109], s[22:23], -v[74:75]
	v_fma_f64 v[90:91], v[114:115], s[22:23], -v[112:113]
	;; [unrolled: 1-line block ×5, first 2 shown]
	v_fma_f64 v[64:65], v[126:127], s[12:13], v[78:79]
	v_fma_f64 v[38:39], v[38:39], s[20:21], -v[131:132]
	v_fma_f64 v[78:79], v[92:93], s[18:19], -v[78:79]
	;; [unrolled: 1-line block ×4, first 2 shown]
	v_mad_u64_u32 v[133:134], null, 0x3b1, v135, v[130:131]
	v_add_co_u32 v94, s1, v24, v136
	s_delay_alu instid0(VALU_DEP_1) | instskip(SKIP_1) | instid1(VALU_DEP_3)
	v_add_co_ci_u32_e64 v95, s1, 0, v25, s1
	v_mov_b32_e32 v134, v32
	v_add_co_u32 v104, s1, 0x1000, v94
	s_delay_alu instid0(VALU_DEP_1)
	v_add_co_ci_u32_e64 v105, s1, 0, v95, s1
	v_fma_f64 v[52:53], v[52:53], s[14:15], v[36:37]
	v_fma_f64 v[70:71], v[70:71], s[12:13], v[30:31]
	v_fma_f64 v[50:51], v[50:51], s[20:21], -v[62:63]
	v_fma_f64 v[62:63], v[122:123], s[12:13], v[116:117]
	v_fma_f64 v[48:49], v[48:49], s[14:15], v[28:29]
	v_fma_f64 v[30:31], v[96:97], s[18:19], -v[30:31]
	v_fma_f64 v[96:97], v[96:97], s[16:17], -v[98:99]
	v_fma_f64 v[98:99], v[56:57], s[6:7], v[118:119]
	v_fma_f64 v[68:69], v[68:69], s[14:15], v[26:27]
	v_fma_f64 v[56:57], v[56:57], s[20:21], -v[128:129]
	v_fma_f64 v[54:55], v[54:55], s[14:15], v[34:35]
	v_fma_f64 v[114:115], v[42:43], s[2:3], v[58:59]
	;; [unrolled: 1-line block ×4, first 2 shown]
	v_add_co_u32 v110, s1, 0x2000, v94
	v_fma_f64 v[66:67], v[40:41], s[2:3], v[88:89]
	v_fma_f64 v[42:43], v[42:43], s[2:3], v[74:75]
	;; [unrolled: 1-line block ×3, first 2 shown]
	v_add_co_ci_u32_e64 v111, s1, 0, v95, s1
	v_add_co_u32 v120, s1, 0x3000, v94
	s_delay_alu instid0(VALU_DEP_1)
	v_add_co_ci_u32_e64 v121, s1, 0, v95, s1
	v_add_f64 v[88:89], v[60:61], v[52:53]
	v_add_f64 v[60:61], v[76:77], v[52:53]
	;; [unrolled: 1-line block ×3, first 2 shown]
	v_fma_f64 v[50:51], v[40:41], s[2:3], v[50:51]
	v_add_f64 v[70:71], v[70:71], v[48:49]
	v_add_f64 v[74:75], v[30:31], v[48:49]
	v_add_nc_u32_e32 v31, 0x87, v133
	v_fma_f64 v[82:83], v[44:45], s[2:3], v[98:99]
	v_add_f64 v[98:99], v[62:63], v[68:69]
	v_add_f64 v[76:77], v[96:97], v[48:49]
	v_fma_f64 v[90:91], v[44:45], s[2:3], v[56:57]
	v_add_f64 v[62:63], v[108:109], v[68:69]
	v_fma_f64 v[96:97], v[44:45], s[2:3], v[106:107]
	v_add_f64 v[102:103], v[102:103], v[68:69]
	v_add_f64 v[118:119], v[64:65], v[54:55]
	v_fma_f64 v[106:107], v[46:47], s[2:3], v[38:39]
	v_add_f64 v[108:109], v[78:79], v[54:55]
	v_fma_f64 v[46:47], v[46:47], s[2:3], v[80:81]
	v_add_f64 v[92:93], v[92:93], v[54:55]
	v_lshlrev_b64 v[112:113], 4, v[133:134]
	v_lshlrev_b64 v[38:39], 4, v[31:32]
	v_add_nc_u32_e32 v31, 0x10e, v133
	s_delay_alu instid0(VALU_DEP_3) | instskip(NEXT) | instid1(VALU_DEP_1)
	v_add_co_u32 v112, s1, v24, v112
	v_add_co_ci_u32_e64 v113, s1, v25, v113, s1
	s_delay_alu instid0(VALU_DEP_3) | instskip(SKIP_2) | instid1(VALU_DEP_1)
	v_lshlrev_b64 v[122:123], 4, v[31:32]
	v_add_nc_u32_e32 v31, 0x195, v133
	v_add_co_u32 v124, s1, v24, v38
	v_add_co_ci_u32_e64 v125, s1, v25, v39, s1
	s_delay_alu instid0(VALU_DEP_3)
	v_lshlrev_b64 v[126:127], 4, v[31:32]
	v_add_nc_u32_e32 v31, 0x21c, v133
	v_add_f64 v[40:41], v[114:115], v[88:89]
	v_add_f64 v[44:45], v[58:59], v[60:61]
	v_add_f64 v[56:57], v[60:61], -v[58:59]
	v_add_f64 v[48:49], v[52:53], -v[42:43]
	v_add_f64 v[80:81], v[70:71], -v[66:67]
	v_add_f64 v[64:65], v[50:51], v[74:75]
	v_add_f64 v[60:61], v[66:67], v[70:71]
	;; [unrolled: 1-line block ×4, first 2 shown]
	v_add_f64 v[68:69], v[76:77], -v[72:73]
	v_add_f64 v[72:73], v[72:73], v[76:77]
	v_add_f64 v[76:77], v[74:75], -v[50:51]
	v_add_f64 v[74:75], v[90:91], v[62:63]
	;; [unrolled: 2-line block ×3, first 2 shown]
	v_add_f64 v[62:63], v[62:63], -v[90:91]
	v_add_f64 v[58:59], v[98:99], -v[82:83]
	;; [unrolled: 1-line block ×3, first 2 shown]
	v_add_f64 v[88:89], v[116:117], v[118:119]
	v_add_f64 v[54:55], v[106:107], v[108:109]
	v_add_f64 v[50:51], v[92:93], -v[46:47]
	v_add_f64 v[46:47], v[46:47], v[92:93]
	v_add_f64 v[42:43], v[108:109], -v[106:107]
	v_add_f64 v[38:39], v[118:119], -v[116:117]
	v_lshlrev_b64 v[92:93], 4, v[31:32]
	v_add_nc_u32_e32 v31, 0x2a3, v133
	v_add_co_u32 v82, s1, v24, v122
	s_delay_alu instid0(VALU_DEP_1) | instskip(NEXT) | instid1(VALU_DEP_3)
	v_add_co_ci_u32_e64 v83, s1, v25, v123, s1
	v_lshlrev_b64 v[98:99], 4, v[31:32]
	v_add_nc_u32_e32 v31, 0x32a, v133
	v_add_co_u32 v96, s1, v24, v126
	s_delay_alu instid0(VALU_DEP_1) | instskip(SKIP_1) | instid1(VALU_DEP_4)
	v_add_co_ci_u32_e64 v97, s1, v25, v127, s1
	v_add_co_u32 v92, s1, v24, v92
	v_lshlrev_b64 v[30:31], 4, v[31:32]
	v_add_co_ci_u32_e64 v93, s1, v25, v93, s1
	v_add_co_u32 v98, s1, v24, v98
	s_delay_alu instid0(VALU_DEP_1) | instskip(NEXT) | instid1(VALU_DEP_4)
	v_add_co_ci_u32_e64 v99, s1, v25, v99, s1
	v_add_co_u32 v30, s1, v24, v30
	s_delay_alu instid0(VALU_DEP_1)
	v_add_co_ci_u32_e64 v31, s1, v25, v31, s1
	s_clause 0xd
	global_store_b128 v[94:95], v[26:29], off
	global_store_b128 v[94:95], v[78:81], off offset:2160
	global_store_b128 v[104:105], v[74:77], off offset:224
	;; [unrolled: 1-line block ×6, first 2 shown]
	global_store_b128 v[112:113], v[34:37], off
	global_store_b128 v[124:125], v[88:91], off
	;; [unrolled: 1-line block ×7, first 2 shown]
	s_and_b32 exec_lo, exec_lo, vcc_lo
	s_cbranch_execz .LBB0_20
; %bb.19:
	v_add_nc_u32_e32 v26, -9, v100
	s_delay_alu instid0(VALU_DEP_1) | instskip(NEXT) | instid1(VALU_DEP_1)
	v_cndmask_b32_e64 v26, v26, v101, s0
	v_mul_i32_i24_e32 v31, 6, v26
	s_delay_alu instid0(VALU_DEP_1) | instskip(NEXT) | instid1(VALU_DEP_1)
	v_lshlrev_b64 v[26:27], 4, v[31:32]
	v_add_co_u32 v30, vcc_lo, s4, v26
	s_delay_alu instid0(VALU_DEP_2)
	v_add_co_ci_u32_e32 v31, vcc_lo, s5, v27, vcc_lo
	s_clause 0x5
	global_load_b128 v[26:29], v[30:31], off offset:2112
	global_load_b128 v[34:37], v[30:31], off offset:2128
	;; [unrolled: 1-line block ×6, first 2 shown]
	s_waitcnt vmcnt(5)
	v_mul_f64 v[30:31], v[14:15], v[28:29]
	v_mul_f64 v[28:29], v[2:3], v[28:29]
	s_waitcnt vmcnt(4)
	v_mul_f64 v[54:55], v[20:21], v[36:37]
	v_mul_f64 v[36:37], v[8:9], v[36:37]
	;; [unrolled: 3-line block ×6, first 2 shown]
	v_fma_f64 v[2:3], v[2:3], v[26:27], -v[30:31]
	v_fma_f64 v[14:15], v[14:15], v[26:27], v[28:29]
	v_fma_f64 v[8:9], v[8:9], v[34:35], -v[54:55]
	v_fma_f64 v[20:21], v[20:21], v[34:35], v[36:37]
	;; [unrolled: 2-line block ×6, first 2 shown]
	v_add_f64 v[30:31], v[2:3], v[26:27]
	v_add_f64 v[34:35], v[14:15], v[28:29]
	;; [unrolled: 1-line block ×4, first 2 shown]
	v_add_f64 v[6:7], v[8:9], -v[6:7]
	v_add_f64 v[8:9], v[20:21], -v[18:19]
	v_add_f64 v[18:19], v[10:11], v[4:5]
	v_add_f64 v[20:21], v[22:23], v[16:17]
	v_add_f64 v[4:5], v[4:5], -v[10:11]
	v_add_f64 v[10:11], v[16:17], -v[22:23]
	;; [unrolled: 1-line block ×4, first 2 shown]
	v_add_f64 v[2:3], v[36:37], v[30:31]
	v_add_f64 v[22:23], v[38:39], v[34:35]
	v_add_f64 v[26:27], v[30:31], -v[18:19]
	v_add_f64 v[28:29], v[34:35], -v[20:21]
	v_add_f64 v[40:41], v[4:5], -v[6:7]
	v_add_f64 v[42:43], v[10:11], -v[8:9]
	v_add_f64 v[44:45], v[6:7], -v[16:17]
	v_add_f64 v[46:47], v[8:9], -v[14:15]
	v_add_f64 v[6:7], v[4:5], v[6:7]
	v_add_f64 v[8:9], v[10:11], v[8:9]
	v_add_f64 v[4:5], v[16:17], -v[4:5]
	v_add_f64 v[10:11], v[14:15], -v[10:11]
	v_add_f64 v[48:49], v[18:19], v[2:3]
	v_add_f64 v[22:23], v[20:21], v[22:23]
	v_add_f64 v[18:19], v[18:19], -v[36:37]
	v_add_f64 v[20:21], v[20:21], -v[38:39]
	v_mul_f64 v[26:27], v[26:27], s[24:25]
	v_mul_f64 v[28:29], v[28:29], s[24:25]
	;; [unrolled: 1-line block ×6, first 2 shown]
	v_add_f64 v[6:7], v[6:7], v[16:17]
	v_add_f64 v[8:9], v[8:9], v[14:15]
	;; [unrolled: 1-line block ×4, first 2 shown]
	v_add_f64 v[12:13], v[36:37], -v[30:31]
	v_add_f64 v[30:31], v[38:39], -v[34:35]
	v_mul_f64 v[34:35], v[18:19], s[12:13]
	v_mul_f64 v[36:37], v[20:21], s[12:13]
	v_fma_f64 v[14:15], v[18:19], s[12:13], v[26:27]
	v_fma_f64 v[16:17], v[20:21], s[12:13], v[28:29]
	;; [unrolled: 1-line block ×4, first 2 shown]
	v_fma_f64 v[38:39], v[44:45], s[22:23], -v[40:41]
	v_fma_f64 v[40:41], v[46:47], s[22:23], -v[42:43]
	;; [unrolled: 1-line block ×4, first 2 shown]
	v_fma_f64 v[42:43], v[48:49], s[14:15], v[0:1]
	v_fma_f64 v[22:23], v[22:23], s[14:15], v[2:3]
	v_fma_f64 v[26:27], v[12:13], s[18:19], -v[26:27]
	v_fma_f64 v[28:29], v[30:31], s[18:19], -v[28:29]
	;; [unrolled: 1-line block ×4, first 2 shown]
	v_mov_b32_e32 v34, v32
	v_fma_f64 v[35:36], v[6:7], s[2:3], v[18:19]
	v_fma_f64 v[44:45], v[8:9], s[2:3], v[20:21]
	;; [unrolled: 1-line block ×6, first 2 shown]
	v_add_f64 v[46:47], v[14:15], v[42:43]
	v_add_f64 v[48:49], v[16:17], v[22:23]
	;; [unrolled: 1-line block ×6, first 2 shown]
	v_add_nc_u32_e32 v31, 0x105, v100
	v_lshlrev_b64 v[4:5], 4, v[33:34]
	s_delay_alu instid0(VALU_DEP_2) | instskip(SKIP_1) | instid1(VALU_DEP_3)
	v_lshlrev_b64 v[33:34], 4, v[31:32]
	v_add_nc_u32_e32 v31, 0x18c, v100
	v_add_co_u32 v41, vcc_lo, v24, v4
	s_delay_alu instid0(VALU_DEP_4) | instskip(NEXT) | instid1(VALU_DEP_3)
	v_add_co_ci_u32_e32 v42, vcc_lo, v25, v5, vcc_lo
	v_lshlrev_b64 v[50:51], 4, v[31:32]
	v_add_nc_u32_e32 v31, 0x213, v100
	v_add_co_u32 v33, vcc_lo, v24, v33
	v_add_co_ci_u32_e32 v34, vcc_lo, v25, v34, vcc_lo
	v_add_f64 v[4:5], v[44:45], v[46:47]
	v_add_f64 v[6:7], v[48:49], -v[35:36]
	v_add_f64 v[8:9], v[39:40], v[26:27]
	v_add_f64 v[10:11], v[28:29], -v[37:38]
	v_add_f64 v[12:13], v[16:17], -v[20:21]
	v_add_f64 v[14:15], v[18:19], v[22:23]
	v_add_f64 v[16:17], v[20:21], v[16:17]
	v_add_f64 v[18:19], v[22:23], -v[18:19]
	v_add_f64 v[20:21], v[26:27], -v[39:40]
	v_add_f64 v[22:23], v[37:38], v[28:29]
	v_add_f64 v[26:27], v[46:47], -v[44:45]
	v_add_f64 v[28:29], v[35:36], v[48:49]
	v_lshlrev_b64 v[35:36], 4, v[31:32]
	v_add_nc_u32_e32 v31, 0x29a, v100
	v_add_co_u32 v37, vcc_lo, v24, v50
	v_add_co_ci_u32_e32 v38, vcc_lo, v25, v51, vcc_lo
	s_delay_alu instid0(VALU_DEP_3) | instskip(SKIP_3) | instid1(VALU_DEP_3)
	v_lshlrev_b64 v[39:40], 4, v[31:32]
	v_add_nc_u32_e32 v31, 0x321, v100
	v_add_co_u32 v35, vcc_lo, v24, v35
	v_add_co_ci_u32_e32 v36, vcc_lo, v25, v36, vcc_lo
	v_lshlrev_b64 v[43:44], 4, v[31:32]
	v_add_nc_u32_e32 v31, 0x3a8, v100
	v_add_co_u32 v39, vcc_lo, v24, v39
	v_add_co_ci_u32_e32 v40, vcc_lo, v25, v40, vcc_lo
	s_delay_alu instid0(VALU_DEP_3) | instskip(SKIP_2) | instid1(VALU_DEP_3)
	v_lshlrev_b64 v[30:31], 4, v[31:32]
	v_add_co_u32 v43, vcc_lo, v24, v43
	v_add_co_ci_u32_e32 v44, vcc_lo, v25, v44, vcc_lo
	v_add_co_u32 v24, vcc_lo, v24, v30
	s_delay_alu instid0(VALU_DEP_4)
	v_add_co_ci_u32_e32 v25, vcc_lo, v25, v31, vcc_lo
	s_clause 0x6
	global_store_b128 v[41:42], v[0:3], off
	global_store_b128 v[33:34], v[4:7], off
	;; [unrolled: 1-line block ×7, first 2 shown]
.LBB0_20:
	s_nop 0
	s_sendmsg sendmsg(MSG_DEALLOC_VGPRS)
	s_endpgm
	.section	.rodata,"a",@progbits
	.p2align	6, 0x0
	.amdhsa_kernel fft_rtc_fwd_len945_factors_3_3_3_5_7_wgs_63_tpt_63_halfLds_dp_op_CI_CI_unitstride_sbrr_dirReg
		.amdhsa_group_segment_fixed_size 0
		.amdhsa_private_segment_fixed_size 0
		.amdhsa_kernarg_size 104
		.amdhsa_user_sgpr_count 15
		.amdhsa_user_sgpr_dispatch_ptr 0
		.amdhsa_user_sgpr_queue_ptr 0
		.amdhsa_user_sgpr_kernarg_segment_ptr 1
		.amdhsa_user_sgpr_dispatch_id 0
		.amdhsa_user_sgpr_private_segment_size 0
		.amdhsa_wavefront_size32 1
		.amdhsa_uses_dynamic_stack 0
		.amdhsa_enable_private_segment 0
		.amdhsa_system_sgpr_workgroup_id_x 1
		.amdhsa_system_sgpr_workgroup_id_y 0
		.amdhsa_system_sgpr_workgroup_id_z 0
		.amdhsa_system_sgpr_workgroup_info 0
		.amdhsa_system_vgpr_workitem_id 0
		.amdhsa_next_free_vgpr 162
		.amdhsa_next_free_sgpr 27
		.amdhsa_reserve_vcc 1
		.amdhsa_float_round_mode_32 0
		.amdhsa_float_round_mode_16_64 0
		.amdhsa_float_denorm_mode_32 3
		.amdhsa_float_denorm_mode_16_64 3
		.amdhsa_dx10_clamp 1
		.amdhsa_ieee_mode 1
		.amdhsa_fp16_overflow 0
		.amdhsa_workgroup_processor_mode 1
		.amdhsa_memory_ordered 1
		.amdhsa_forward_progress 0
		.amdhsa_shared_vgpr_count 0
		.amdhsa_exception_fp_ieee_invalid_op 0
		.amdhsa_exception_fp_denorm_src 0
		.amdhsa_exception_fp_ieee_div_zero 0
		.amdhsa_exception_fp_ieee_overflow 0
		.amdhsa_exception_fp_ieee_underflow 0
		.amdhsa_exception_fp_ieee_inexact 0
		.amdhsa_exception_int_div_zero 0
	.end_amdhsa_kernel
	.text
.Lfunc_end0:
	.size	fft_rtc_fwd_len945_factors_3_3_3_5_7_wgs_63_tpt_63_halfLds_dp_op_CI_CI_unitstride_sbrr_dirReg, .Lfunc_end0-fft_rtc_fwd_len945_factors_3_3_3_5_7_wgs_63_tpt_63_halfLds_dp_op_CI_CI_unitstride_sbrr_dirReg
                                        ; -- End function
	.section	.AMDGPU.csdata,"",@progbits
; Kernel info:
; codeLenInByte = 12744
; NumSgprs: 29
; NumVgprs: 162
; ScratchSize: 0
; MemoryBound: 1
; FloatMode: 240
; IeeeMode: 1
; LDSByteSize: 0 bytes/workgroup (compile time only)
; SGPRBlocks: 3
; VGPRBlocks: 20
; NumSGPRsForWavesPerEU: 29
; NumVGPRsForWavesPerEU: 162
; Occupancy: 9
; WaveLimiterHint : 1
; COMPUTE_PGM_RSRC2:SCRATCH_EN: 0
; COMPUTE_PGM_RSRC2:USER_SGPR: 15
; COMPUTE_PGM_RSRC2:TRAP_HANDLER: 0
; COMPUTE_PGM_RSRC2:TGID_X_EN: 1
; COMPUTE_PGM_RSRC2:TGID_Y_EN: 0
; COMPUTE_PGM_RSRC2:TGID_Z_EN: 0
; COMPUTE_PGM_RSRC2:TIDIG_COMP_CNT: 0
	.text
	.p2alignl 7, 3214868480
	.fill 96, 4, 3214868480
	.type	__hip_cuid_89e70ed2a20a61dc,@object ; @__hip_cuid_89e70ed2a20a61dc
	.section	.bss,"aw",@nobits
	.globl	__hip_cuid_89e70ed2a20a61dc
__hip_cuid_89e70ed2a20a61dc:
	.byte	0                               ; 0x0
	.size	__hip_cuid_89e70ed2a20a61dc, 1

	.ident	"AMD clang version 19.0.0git (https://github.com/RadeonOpenCompute/llvm-project roc-6.4.0 25133 c7fe45cf4b819c5991fe208aaa96edf142730f1d)"
	.section	".note.GNU-stack","",@progbits
	.addrsig
	.addrsig_sym __hip_cuid_89e70ed2a20a61dc
	.amdgpu_metadata
---
amdhsa.kernels:
  - .args:
      - .actual_access:  read_only
        .address_space:  global
        .offset:         0
        .size:           8
        .value_kind:     global_buffer
      - .offset:         8
        .size:           8
        .value_kind:     by_value
      - .actual_access:  read_only
        .address_space:  global
        .offset:         16
        .size:           8
        .value_kind:     global_buffer
      - .actual_access:  read_only
        .address_space:  global
        .offset:         24
        .size:           8
        .value_kind:     global_buffer
      - .actual_access:  read_only
        .address_space:  global
        .offset:         32
        .size:           8
        .value_kind:     global_buffer
      - .offset:         40
        .size:           8
        .value_kind:     by_value
      - .actual_access:  read_only
        .address_space:  global
        .offset:         48
        .size:           8
        .value_kind:     global_buffer
      - .actual_access:  read_only
        .address_space:  global
        .offset:         56
        .size:           8
        .value_kind:     global_buffer
      - .offset:         64
        .size:           4
        .value_kind:     by_value
      - .actual_access:  read_only
        .address_space:  global
        .offset:         72
        .size:           8
        .value_kind:     global_buffer
      - .actual_access:  read_only
        .address_space:  global
        .offset:         80
        .size:           8
        .value_kind:     global_buffer
      - .actual_access:  read_only
        .address_space:  global
        .offset:         88
        .size:           8
        .value_kind:     global_buffer
      - .actual_access:  write_only
        .address_space:  global
        .offset:         96
        .size:           8
        .value_kind:     global_buffer
    .group_segment_fixed_size: 0
    .kernarg_segment_align: 8
    .kernarg_segment_size: 104
    .language:       OpenCL C
    .language_version:
      - 2
      - 0
    .max_flat_workgroup_size: 63
    .name:           fft_rtc_fwd_len945_factors_3_3_3_5_7_wgs_63_tpt_63_halfLds_dp_op_CI_CI_unitstride_sbrr_dirReg
    .private_segment_fixed_size: 0
    .sgpr_count:     29
    .sgpr_spill_count: 0
    .symbol:         fft_rtc_fwd_len945_factors_3_3_3_5_7_wgs_63_tpt_63_halfLds_dp_op_CI_CI_unitstride_sbrr_dirReg.kd
    .uniform_work_group_size: 1
    .uses_dynamic_stack: false
    .vgpr_count:     162
    .vgpr_spill_count: 0
    .wavefront_size: 32
    .workgroup_processor_mode: 1
amdhsa.target:   amdgcn-amd-amdhsa--gfx1100
amdhsa.version:
  - 1
  - 2
...

	.end_amdgpu_metadata
